;; amdgpu-corpus repo=ROCm/rocFFT kind=compiled arch=gfx950 opt=O3
	.text
	.amdgcn_target "amdgcn-amd-amdhsa--gfx950"
	.amdhsa_code_object_version 6
	.protected	fft_rtc_fwd_len1375_factors_11_5_5_5_wgs_55_tpt_55_halfLds_sp_ip_CI_unitstride_sbrr_dirReg ; -- Begin function fft_rtc_fwd_len1375_factors_11_5_5_5_wgs_55_tpt_55_halfLds_sp_ip_CI_unitstride_sbrr_dirReg
	.globl	fft_rtc_fwd_len1375_factors_11_5_5_5_wgs_55_tpt_55_halfLds_sp_ip_CI_unitstride_sbrr_dirReg
	.p2align	8
	.type	fft_rtc_fwd_len1375_factors_11_5_5_5_wgs_55_tpt_55_halfLds_sp_ip_CI_unitstride_sbrr_dirReg,@function
fft_rtc_fwd_len1375_factors_11_5_5_5_wgs_55_tpt_55_halfLds_sp_ip_CI_unitstride_sbrr_dirReg: ; @fft_rtc_fwd_len1375_factors_11_5_5_5_wgs_55_tpt_55_halfLds_sp_ip_CI_unitstride_sbrr_dirReg
; %bb.0:
	s_load_dwordx2 s[8:9], s[0:1], 0x50
	s_load_dwordx4 s[4:7], s[0:1], 0x0
	s_load_dwordx2 s[10:11], s[0:1], 0x18
	v_mul_u32_u24_e32 v1, 0x4a8, v0
	v_add_u32_sdwa v6, s2, v1 dst_sel:DWORD dst_unused:UNUSED_PAD src0_sel:DWORD src1_sel:WORD_1
	v_mov_b32_e32 v4, 0
	s_waitcnt lgkmcnt(0)
	v_cmp_lt_u64_e64 s[2:3], s[6:7], 2
	v_mov_b32_e32 v7, v4
	s_and_b64 vcc, exec, s[2:3]
	v_mov_b64_e32 v[2:3], 0
	s_cbranch_vccnz .LBB0_8
; %bb.1:
	s_load_dwordx2 s[2:3], s[0:1], 0x10
	s_add_u32 s12, s10, 8
	s_addc_u32 s13, s11, 0
	s_mov_b64 s[14:15], 1
	v_mov_b64_e32 v[2:3], 0
	s_waitcnt lgkmcnt(0)
	s_add_u32 s16, s2, 8
	s_addc_u32 s17, s3, 0
.LBB0_2:                                ; =>This Inner Loop Header: Depth=1
	s_load_dwordx2 s[18:19], s[16:17], 0x0
                                        ; implicit-def: $vgpr8_vgpr9
	s_waitcnt lgkmcnt(0)
	v_or_b32_e32 v5, s19, v7
	v_cmp_ne_u64_e32 vcc, 0, v[4:5]
	s_and_saveexec_b64 s[2:3], vcc
	s_xor_b64 s[20:21], exec, s[2:3]
	s_cbranch_execz .LBB0_4
; %bb.3:                                ;   in Loop: Header=BB0_2 Depth=1
	v_cvt_f32_u32_e32 v1, s18
	v_cvt_f32_u32_e32 v5, s19
	s_sub_u32 s2, 0, s18
	s_subb_u32 s3, 0, s19
	v_fmac_f32_e32 v1, 0x4f800000, v5
	v_rcp_f32_e32 v1, v1
	s_nop 0
	v_mul_f32_e32 v1, 0x5f7ffffc, v1
	v_mul_f32_e32 v5, 0x2f800000, v1
	v_trunc_f32_e32 v5, v5
	v_fmac_f32_e32 v1, 0xcf800000, v5
	v_cvt_u32_f32_e32 v5, v5
	v_cvt_u32_f32_e32 v1, v1
	v_mul_lo_u32 v8, s2, v5
	v_mul_hi_u32 v10, s2, v1
	v_mul_lo_u32 v9, s3, v1
	v_add_u32_e32 v10, v10, v8
	v_mul_lo_u32 v12, s2, v1
	v_add_u32_e32 v13, v10, v9
	v_mul_hi_u32 v8, v1, v12
	v_mul_hi_u32 v11, v1, v13
	v_mul_lo_u32 v10, v1, v13
	v_mov_b32_e32 v9, v4
	v_lshl_add_u64 v[8:9], v[8:9], 0, v[10:11]
	v_mul_hi_u32 v11, v5, v12
	v_mul_lo_u32 v12, v5, v12
	v_add_co_u32_e32 v8, vcc, v8, v12
	v_mul_hi_u32 v10, v5, v13
	s_nop 0
	v_addc_co_u32_e32 v8, vcc, v9, v11, vcc
	v_mov_b32_e32 v9, v4
	s_nop 0
	v_addc_co_u32_e32 v11, vcc, 0, v10, vcc
	v_mul_lo_u32 v10, v5, v13
	v_lshl_add_u64 v[8:9], v[8:9], 0, v[10:11]
	v_add_co_u32_e32 v1, vcc, v1, v8
	v_mul_lo_u32 v10, s2, v1
	s_nop 0
	v_addc_co_u32_e32 v5, vcc, v5, v9, vcc
	v_mul_lo_u32 v8, s2, v5
	v_mul_hi_u32 v9, s2, v1
	v_add_u32_e32 v8, v9, v8
	v_mul_lo_u32 v9, s3, v1
	v_add_u32_e32 v12, v8, v9
	v_mul_hi_u32 v14, v5, v10
	v_mul_lo_u32 v15, v5, v10
	v_mul_hi_u32 v9, v1, v12
	v_mul_lo_u32 v8, v1, v12
	v_mul_hi_u32 v10, v1, v10
	v_mov_b32_e32 v11, v4
	v_lshl_add_u64 v[8:9], v[10:11], 0, v[8:9]
	v_add_co_u32_e32 v8, vcc, v8, v15
	v_mul_hi_u32 v13, v5, v12
	s_nop 0
	v_addc_co_u32_e32 v8, vcc, v9, v14, vcc
	v_mul_lo_u32 v10, v5, v12
	s_nop 0
	v_addc_co_u32_e32 v11, vcc, 0, v13, vcc
	v_mov_b32_e32 v9, v4
	v_lshl_add_u64 v[8:9], v[8:9], 0, v[10:11]
	v_add_co_u32_e32 v1, vcc, v1, v8
	v_mul_hi_u32 v10, v6, v1
	s_nop 0
	v_addc_co_u32_e32 v5, vcc, v5, v9, vcc
	v_mad_u64_u32 v[8:9], s[2:3], v6, v5, 0
	v_mov_b32_e32 v11, v4
	v_lshl_add_u64 v[8:9], v[10:11], 0, v[8:9]
	v_mad_u64_u32 v[12:13], s[2:3], v7, v1, 0
	v_add_co_u32_e32 v1, vcc, v8, v12
	v_mad_u64_u32 v[10:11], s[2:3], v7, v5, 0
	s_nop 0
	v_addc_co_u32_e32 v8, vcc, v9, v13, vcc
	v_mov_b32_e32 v9, v4
	s_nop 0
	v_addc_co_u32_e32 v11, vcc, 0, v11, vcc
	v_lshl_add_u64 v[8:9], v[8:9], 0, v[10:11]
	v_mul_lo_u32 v1, s19, v8
	v_mul_lo_u32 v5, s18, v9
	v_mad_u64_u32 v[10:11], s[2:3], s18, v8, 0
	v_add3_u32 v1, v11, v5, v1
	v_sub_u32_e32 v5, v7, v1
	v_mov_b32_e32 v11, s19
	v_sub_co_u32_e32 v14, vcc, v6, v10
	v_lshl_add_u64 v[12:13], v[8:9], 0, 1
	s_nop 0
	v_subb_co_u32_e64 v5, s[2:3], v5, v11, vcc
	v_subrev_co_u32_e64 v10, s[2:3], s18, v14
	v_subb_co_u32_e32 v1, vcc, v7, v1, vcc
	s_nop 0
	v_subbrev_co_u32_e64 v5, s[2:3], 0, v5, s[2:3]
	v_cmp_le_u32_e64 s[2:3], s19, v5
	v_cmp_le_u32_e32 vcc, s19, v1
	s_nop 0
	v_cndmask_b32_e64 v11, 0, -1, s[2:3]
	v_cmp_le_u32_e64 s[2:3], s18, v10
	s_nop 1
	v_cndmask_b32_e64 v10, 0, -1, s[2:3]
	v_cmp_eq_u32_e64 s[2:3], s19, v5
	s_nop 1
	v_cndmask_b32_e64 v5, v11, v10, s[2:3]
	v_lshl_add_u64 v[10:11], v[8:9], 0, 2
	v_cmp_ne_u32_e64 s[2:3], 0, v5
	s_nop 1
	v_cndmask_b32_e64 v5, v13, v11, s[2:3]
	v_cndmask_b32_e64 v11, 0, -1, vcc
	v_cmp_le_u32_e32 vcc, s18, v14
	s_nop 1
	v_cndmask_b32_e64 v13, 0, -1, vcc
	v_cmp_eq_u32_e32 vcc, s19, v1
	s_nop 1
	v_cndmask_b32_e32 v1, v11, v13, vcc
	v_cmp_ne_u32_e32 vcc, 0, v1
	v_cndmask_b32_e64 v1, v12, v10, s[2:3]
	s_nop 0
	v_cndmask_b32_e32 v9, v9, v5, vcc
	v_cndmask_b32_e32 v8, v8, v1, vcc
.LBB0_4:                                ;   in Loop: Header=BB0_2 Depth=1
	s_andn2_saveexec_b64 s[2:3], s[20:21]
	s_cbranch_execz .LBB0_6
; %bb.5:                                ;   in Loop: Header=BB0_2 Depth=1
	v_cvt_f32_u32_e32 v1, s18
	s_sub_i32 s20, 0, s18
	v_rcp_iflag_f32_e32 v1, v1
	s_nop 0
	v_mul_f32_e32 v1, 0x4f7ffffe, v1
	v_cvt_u32_f32_e32 v1, v1
	v_mul_lo_u32 v5, s20, v1
	v_mul_hi_u32 v5, v1, v5
	v_add_u32_e32 v1, v1, v5
	v_mul_hi_u32 v1, v6, v1
	v_mul_lo_u32 v5, v1, s18
	v_sub_u32_e32 v5, v6, v5
	v_add_u32_e32 v8, 1, v1
	v_subrev_u32_e32 v9, s18, v5
	v_cmp_le_u32_e32 vcc, s18, v5
	s_nop 1
	v_cndmask_b32_e32 v5, v5, v9, vcc
	v_cndmask_b32_e32 v1, v1, v8, vcc
	v_add_u32_e32 v8, 1, v1
	v_cmp_le_u32_e32 vcc, s18, v5
	v_mov_b32_e32 v9, v4
	s_nop 0
	v_cndmask_b32_e32 v8, v1, v8, vcc
.LBB0_6:                                ;   in Loop: Header=BB0_2 Depth=1
	s_or_b64 exec, exec, s[2:3]
	v_mad_u64_u32 v[10:11], s[2:3], v8, s18, 0
	s_load_dwordx2 s[2:3], s[12:13], 0x0
	v_mul_lo_u32 v1, v9, s18
	v_mul_lo_u32 v5, v8, s19
	v_add3_u32 v1, v11, v5, v1
	v_sub_co_u32_e32 v5, vcc, v6, v10
	s_add_u32 s14, s14, 1
	s_nop 0
	v_subb_co_u32_e32 v1, vcc, v7, v1, vcc
	s_addc_u32 s15, s15, 0
	s_waitcnt lgkmcnt(0)
	v_mul_lo_u32 v1, s2, v1
	v_mul_lo_u32 v6, s3, v5
	v_mad_u64_u32 v[2:3], s[2:3], s2, v5, v[2:3]
	s_add_u32 s12, s12, 8
	v_add3_u32 v3, v6, v3, v1
	s_addc_u32 s13, s13, 0
	v_mov_b64_e32 v[6:7], s[6:7]
	s_add_u32 s16, s16, 8
	v_cmp_ge_u64_e32 vcc, s[14:15], v[6:7]
	s_addc_u32 s17, s17, 0
	s_cbranch_vccnz .LBB0_9
; %bb.7:                                ;   in Loop: Header=BB0_2 Depth=1
	v_mov_b64_e32 v[6:7], v[8:9]
	s_branch .LBB0_2
.LBB0_8:
	v_mov_b64_e32 v[8:9], v[6:7]
.LBB0_9:
	s_lshl_b64 s[2:3], s[6:7], 3
	s_add_u32 s2, s10, s2
	s_addc_u32 s3, s11, s3
	s_load_dwordx2 s[6:7], s[2:3], 0x0
	s_load_dwordx2 s[10:11], s[0:1], 0x20
	s_mov_b32 s2, 0x4a7904b
	v_mov_b32_e32 v5, 0
                                        ; implicit-def: $vgpr16
                                        ; implicit-def: $vgpr21
                                        ; implicit-def: $vgpr84
                                        ; implicit-def: $vgpr66
                                        ; implicit-def: $vgpr78
                                        ; implicit-def: $vgpr24
                                        ; implicit-def: $vgpr14
                                        ; implicit-def: $vgpr18
                                        ; implicit-def: $vgpr6
                                        ; implicit-def: $vgpr10
                                        ; implicit-def: $vgpr22
                                        ; implicit-def: $vgpr58
                                        ; implicit-def: $vgpr36
                                        ; implicit-def: $vgpr28
                                        ; implicit-def: $vgpr30
                                        ; implicit-def: $vgpr42
                                        ; implicit-def: $vgpr69
                                        ; implicit-def: $vgpr32
                                        ; implicit-def: $vgpr34
                                        ; implicit-def: $vgpr48
                                        ; implicit-def: $vgpr56
                                        ; implicit-def: $vgpr62
                                        ; implicit-def: $vgpr91
                                        ; implicit-def: $vgpr60
                                        ; implicit-def: $vgpr50
                                        ; implicit-def: $vgpr12
                                        ; implicit-def: $vgpr40
                                        ; implicit-def: $vgpr64
                                        ; implicit-def: $vgpr52
                                        ; implicit-def: $vgpr54
                                        ; implicit-def: $vgpr26
                                        ; implicit-def: $vgpr46
                                        ; implicit-def: $vgpr44
                                        ; implicit-def: $vgpr38
	s_waitcnt lgkmcnt(0)
	v_mul_lo_u32 v1, s6, v9
	v_mul_lo_u32 v4, s7, v8
	v_mad_u64_u32 v[2:3], s[0:1], s6, v8, v[2:3]
	v_add3_u32 v3, v4, v3, v1
	v_mul_hi_u32 v1, v0, s2
	v_mul_u32_u24_e32 v1, 55, v1
	v_cmp_gt_u64_e64 s[0:1], s[10:11], v[8:9]
	v_sub_u32_e32 v0, v0, v1
	v_lshl_add_u64 v[2:3], v[2:3], 3, s[8:9]
	v_mov_b32_e32 v1, 0
                                        ; implicit-def: $vgpr8
	s_and_saveexec_b64 s[2:3], s[0:1]
	s_cbranch_execz .LBB0_13
; %bb.10:
	v_mov_b32_e32 v1, 0
	v_lshl_add_u64 v[66:67], v[0:1], 3, v[2:3]
	v_add_co_u32_e32 v4, vcc, 0x1000, v66
	global_load_dwordx2 v[40:41], v[66:67], off
	global_load_dwordx2 v[64:65], v[66:67], off offset:2000
	global_load_dwordx2 v[52:53], v[66:67], off offset:4000
	v_addc_co_u32_e32 v5, vcc, 0, v67, vcc
	v_add_co_u32_e32 v6, vcc, 0x2000, v66
	global_load_dwordx2 v[50:51], v[4:5], off offset:1904
	global_load_dwordx2 v[62:63], v[4:5], off offset:3904
	v_addc_co_u32_e32 v7, vcc, 0, v67, vcc
	global_load_dwordx2 v[68:69], v[66:67], off offset:1440
	global_load_dwordx2 v[70:71], v[66:67], off offset:1000
	global_load_dwordx2 v[26:27], v[66:67], off offset:440
	global_load_dwordx2 v[36:37], v[66:67], off offset:3440
	global_load_dwordx2 v[58:59], v[66:67], off offset:3000
	global_load_dwordx2 v[46:47], v[66:67], off offset:2440
	global_load_dwordx2 v[38:39], v[4:5], off offset:1344
	global_load_dwordx2 v[54:55], v[4:5], off offset:904
	global_load_dwordx2 v[44:45], v[4:5], off offset:344
	global_load_dwordx2 v[32:33], v[4:5], off offset:3344
	global_load_dwordx2 v[60:61], v[4:5], off offset:2904
	global_load_dwordx2 v[34:35], v[4:5], off offset:2344
	global_load_dwordx2 v[30:31], v[6:7], off offset:1248
	global_load_dwordx2 v[56:57], v[6:7], off offset:808
	global_load_dwordx2 v[42:43], v[6:7], off offset:248
                                        ; kill: killed $vgpr4 killed $vgpr5
	global_load_dwordx2 v[48:49], v[6:7], off offset:1808
	global_load_dwordx2 v[28:29], v[6:7], off offset:2248
	v_cmp_gt_u32_e32 vcc, 15, v0
	v_mov_b32_e32 v5, 0
                                        ; implicit-def: $vgpr13
                                        ; implicit-def: $vgpr9
                                        ; implicit-def: $vgpr23
                                        ; implicit-def: $vgpr11
                                        ; implicit-def: $vgpr7
                                        ; implicit-def: $vgpr19
                                        ; implicit-def: $vgpr15
                                        ; implicit-def: $vgpr20
                                        ; implicit-def: $vgpr24
                                        ; implicit-def: $vgpr78
                                        ; implicit-def: $vgpr17
	s_and_saveexec_b64 s[6:7], vcc
	s_cbranch_execz .LBB0_12
; %bb.11:
	v_add_co_u32_e32 v16, vcc, 0x1000, v66
	global_load_dwordx2 v[4:5], v[66:67], off offset:880
	global_load_dwordx2 v[12:13], v[66:67], off offset:1880
	v_addc_co_u32_e32 v17, vcc, 0, v67, vcc
	v_add_co_u32_e32 v72, vcc, 0x2000, v66
	global_load_dwordx2 v[20:21], v[16:17], off offset:2784
	global_load_dwordx2 v[6:7], v[16:17], off offset:3784
	v_addc_co_u32_e32 v73, vcc, 0, v67, vcc
	global_load_dwordx2 v[78:79], v[66:67], off offset:3880
	global_load_dwordx2 v[22:23], v[66:67], off offset:2880
	v_or_b32_e32 v8, 0x550, v0
	v_mov_b32_e32 v9, v1
	v_lshl_add_u64 v[66:67], v[8:9], 3, v[2:3]
	global_load_dwordx2 v[10:11], v[72:73], off offset:688
	global_load_dwordx2 v[8:9], v[72:73], off offset:1688
	global_load_dwordx2 v[24:25], v[66:67], off
	global_load_dwordx2 v[14:15], v[16:17], off offset:1784
	global_load_dwordx2 v[18:19], v[16:17], off offset:784
	s_waitcnt vmcnt(10)
	v_mov_b32_e32 v1, v4
	s_waitcnt vmcnt(6)
	v_mov_b32_e32 v16, v79
	s_waitcnt vmcnt(2)
	v_mov_b32_e32 v17, v25
.LBB0_12:
	s_or_b64 exec, exec, s[6:7]
	s_waitcnt vmcnt(12)
	v_mov_b32_e32 v84, v59
	v_mov_b32_e32 v85, v71
	;; [unrolled: 1-line block ×6, first 2 shown]
	s_waitcnt vmcnt(2)
	v_mov_b32_e32 v69, v43
	v_mov_b32_e32 v91, v63
.LBB0_13:
	s_or_b64 exec, exec, s[2:3]
	v_pk_add_f32 v[92:93], v[56:57], v[64:65]
	v_pk_add_f32 v[98:99], v[64:65], v[56:57] neg_lo:[0,1] neg_hi:[0,1]
	s_mov_b32 s6, 0x3ed4b147
	v_mov_b32_e32 v70, v92
	v_mov_b32_e32 v71, v99
	s_mov_b32 s7, 0xbf68dda4
	v_pk_mul_f32 v[72:73], v[70:71], s[6:7]
	v_mov_b32_e32 v63, v84
	v_mov_b32_e32 v90, v58
	;; [unrolled: 1-line block ×3, first 2 shown]
	v_pk_add_f32 v[140:141], v[62:63], v[90:91]
	v_pk_add_f32 v[124:125], v[62:63], v[90:91] neg_lo:[0,1] neg_hi:[0,1]
	s_mov_b32 s8, 0xbe11bafb
	v_add_f32_e32 v4, v40, v59
	v_pk_fma_f32 v[144:145], v[70:71], s[6:7], v[24:25] neg_lo:[1,0,0] neg_hi:[1,0,0]
	v_mov_b32_e32 v70, v140
	v_mov_b32_e32 v71, v125
	s_mov_b32 s9, 0xbf7d64f0
	v_add_f32_e32 v116, v4, v64
	v_add_f32_e32 v64, v73, v72
	v_pk_mul_f32 v[72:73], v[70:71], s[8:9]
	v_pk_add_f32 v[108:109], v[60:61], v[52:53]
	v_mov_b32_e32 v25, v72
	v_pk_add_f32 v[110:111], v[52:53], v[60:61] neg_lo:[0,1] neg_hi:[0,1]
	s_mov_b32 s12, 0xbf27a4f4
	s_waitcnt vmcnt(1)
	v_mov_b32_e32 v117, v48
	v_pk_add_f32 v[122:123], v[84:85], v[48:49] neg_lo:[0,1] neg_hi:[0,1]
	v_pk_fma_f32 v[132:133], v[70:71], s[8:9], v[24:25] neg_lo:[1,0,0] neg_hi:[1,0,0]
	v_mov_b32_e32 v70, v108
	v_mov_b32_e32 v71, v111
	s_mov_b32 s13, 0xbf4178ce
	v_pk_add_f32 v[150:151], v[116:117], v[58:59]
	v_mul_f32_e32 v143, 0xbf0a6770, v123
	v_add_f32_e32 v90, v73, v72
	v_pk_mul_f32 v[72:73], v[70:71], s[12:13]
	v_mov_b32_e32 v117, 0x3f575c64
	v_mov_b32_e32 v116, v52
	v_pk_add_f32 v[152:153], v[150:151], v[52:53]
	v_mov_b32_e32 v142, v54
	v_mov_b32_e32 v25, v72
	v_pk_add_f32 v[112:113], v[50:51], v[54:55]
	v_pk_add_f32 v[114:115], v[54:55], v[50:51] neg_lo:[0,1] neg_hi:[0,1]
	s_mov_b32 s10, 0xbf75a155
	v_pk_add_f32 v[152:153], v[152:153], v[54:55]
	v_pk_fma_f32 v[142:143], v[150:151], v[116:117], v[142:143] neg_lo:[0,0,1] neg_hi:[0,0,1]
	v_pk_fma_f32 v[146:147], v[70:71], s[12:13], v[24:25] neg_lo:[1,0,0] neg_hi:[1,0,0]
	v_mov_b32_e32 v70, v112
	v_mov_b32_e32 v71, v115
	s_mov_b32 s11, 0xbe903f40
	v_mov_b32_e32 v153, v143
	v_mov_b32_e32 v142, v50
	v_mov_b32_e32 v143, v40
	v_add_f32_e32 v130, v73, v72
	v_pk_mul_f32 v[72:73], v[70:71], s[10:11]
	v_pk_add_f32 v[142:143], v[152:153], v[142:143]
	v_mov_b32_e32 v144, v60
	v_mov_b32_e32 v25, v72
	v_pk_add_f32 v[142:143], v[144:145], v[142:143]
	v_mov_b32_e32 v63, v133
	v_pk_fma_f32 v[148:149], v[70:71], s[10:11], v[24:25] neg_lo:[1,0,0] neg_hi:[1,0,0]
	v_pk_mul_f32 v[154:155], v[150:151], v[116:117]
	v_pk_add_f32 v[142:143], v[62:63], v[142:143]
	v_mov_b32_e32 v146, v56
	v_add_f32_e32 v4, v26, v37
	v_mov_b32_e32 v43, v66
	v_mov_b32_e32 v68, v36
	v_fmac_f32_e32 v155, 0xbf0a6770, v123
	v_pk_add_f32 v[142:143], v[146:147], v[142:143]
	v_mov_b32_e32 v148, v48
	s_mov_b32 s24, s6
	s_mov_b32 s25, s8
	v_add_f32_e32 v132, v4, v46
	v_pk_add_f32 v[126:127], v[42:43], v[68:69]
	v_pk_add_f32 v[120:121], v[42:43], v[68:69] neg_lo:[0,1] neg_hi:[0,1]
	v_mad_u32_u24 v4, v0, 44, 0
	v_add_f32_e32 v43, v155, v40
	v_pk_add_f32 v[142:143], v[148:149], v[142:143]
	s_mov_b32 s20, s7
	s_mov_b32 s21, s9
	;; [unrolled: 1-line block ×4, first 2 shown]
	v_pk_mul_f32 v[160:161], v[150:151], s[24:25] op_sel:[1,0]
	v_add_f32_e32 v43, v43, v64
	ds_write2_b32 v4, v142, v143 offset1:1
	v_pk_mul_f32 v[142:143], v[92:93], s[16:17] op_sel_hi:[0,1]
	s_mov_b32 s27, 0x3e903f40
	s_mov_b32 s26, s13
	;; [unrolled: 1-line block ×4, first 2 shown]
	v_pk_fma_f32 v[162:163], v[122:123], s[20:21], v[160:161] op_sel:[1,0,0] neg_lo:[1,0,0] neg_hi:[1,0,0]
	s_mov_b32 s2, 0x3f7d64f0
	s_mov_b32 s15, 0x3f575c64
	v_add_f32_e32 v43, v43, v90
	v_pk_fma_f32 v[144:145], v[98:99], s[26:27], v[142:143] op_sel:[1,0,0] neg_lo:[1,0,0] neg_hi:[1,0,0]
	v_pk_mul_f32 v[146:147], v[140:141], s[18:19] op_sel_hi:[0,1]
	s_mov_b32 s29, 0x3f68dda4
	s_mov_b32 s28, s27
	;; [unrolled: 1-line block ×3, first 2 shown]
	v_pk_add_f32 v[162:163], v[162:163], v[40:41] op_sel_hi:[1,0]
	s_mov_b32 s3, 0xbf0a6770
	v_add_f32_e32 v156, v73, v72
	v_add_f32_e32 v43, v43, v130
	v_pk_fma_f32 v[148:149], v[124:125], s[28:29], v[146:147] op_sel:[1,0,0] neg_lo:[1,0,0] neg_hi:[1,0,0]
	v_pk_mul_f32 v[152:153], v[108:109], s[14:15] op_sel_hi:[0,1]
	s_mov_b32 s22, s15
	s_mov_b32 s23, s12
	v_pk_add_f32 v[144:145], v[162:163], v[144:145]
	v_add_f32_e32 v52, v43, v156
	v_pk_fma_f32 v[154:155], v[110:111], s[2:3], v[152:153] op_sel:[1,0,0] neg_lo:[1,0,0] neg_hi:[1,0,0]
	v_pk_mul_f32 v[156:157], v[112:113], s[22:23] op_sel_hi:[0,1]
	s_mov_b32 s30, 0x3f0a6770
	s_mov_b32 s31, s13
	v_pk_add_f32 v[144:145], v[144:145], v[148:149]
	v_pk_fma_f32 v[158:159], v[114:115], s[30:31], v[156:157] op_sel:[1,0,0] neg_lo:[1,0,0] neg_hi:[1,0,0]
	v_pk_add_f32 v[144:145], v[144:145], v[154:155]
	s_mov_b32 s34, s13
	v_pk_add_f32 v[144:145], v[144:145], v[158:159]
	s_mov_b32 s35, s11
	v_pk_mul_f32 v[150:151], v[150:151], s[16:17] op_sel:[1,0]
	ds_write2_b32 v4, v144, v145 offset0:2 offset1:3
	v_pk_mul_f32 v[144:145], v[92:93], s[14:15] op_sel_hi:[0,1]
	s_mov_b32 s36, s2
	s_mov_b32 s37, s30
	v_pk_fma_f32 v[162:163], v[122:123], s[34:35], v[150:151] op_sel:[1,0,0] neg_lo:[1,0,0] neg_hi:[1,0,0]
	v_pk_fma_f32 v[148:149], v[98:99], s[36:37], v[144:145] op_sel:[1,0,0] neg_lo:[1,0,0] neg_hi:[1,0,0]
	v_pk_mul_f32 v[140:141], v[140:141], s[22:23] op_sel_hi:[0,1]
	s_mov_b32 s40, s3
	s_mov_b32 s41, s13
	v_pk_add_f32 v[162:163], v[162:163], v[40:41] op_sel_hi:[1,0]
	v_pk_fma_f32 v[154:155], v[124:125], s[40:41], v[140:141] op_sel:[1,0,0] neg_lo:[1,0,0] neg_hi:[1,0,0]
	v_pk_mul_f32 v[158:159], v[108:109], s[18:19] op_sel_hi:[0,1]
	s_mov_b32 s38, s11
	s_mov_b32 s39, s29
	v_pk_add_f32 v[148:149], v[162:163], v[148:149]
	v_pk_fma_f32 v[162:163], v[110:111], s[38:39], v[158:159] op_sel:[1,0,0] neg_lo:[1,0,0] neg_hi:[1,0,0]
	v_pk_add_f32 v[148:149], v[148:149], v[154:155]
	v_pk_mul_f32 v[154:155], v[112:113], s[24:25] op_sel_hi:[0,1]
	s_mov_b32 s42, s29
	s_mov_b32 s43, s9
	v_pk_fma_f32 v[150:151], v[122:123], s[34:35], v[150:151] op_sel:[1,0,0]
	v_pk_add_f32 v[148:149], v[148:149], v[162:163]
	v_pk_fma_f32 v[162:163], v[114:115], s[42:43], v[154:155] op_sel:[1,0,0] neg_lo:[1,0,0] neg_hi:[1,0,0]
	v_pk_fma_f32 v[144:145], v[98:99], s[36:37], v[144:145] op_sel:[1,0,0]
	v_pk_add_f32 v[150:151], v[150:151], v[40:41] op_sel_hi:[1,0]
	v_pk_add_f32 v[148:149], v[148:149], v[162:163]
	v_pk_fma_f32 v[140:141], v[124:125], s[40:41], v[140:141] op_sel:[1,0,0]
	v_pk_add_f32 v[144:145], v[150:151], v[144:145]
	ds_write2_b32 v4, v148, v149 offset0:4 offset1:5
	v_pk_fma_f32 v[148:149], v[110:111], s[38:39], v[158:159] op_sel:[1,0,0]
	v_pk_add_f32 v[140:141], v[144:145], v[140:141]
	v_pk_add_f32 v[94:95], v[30:31], v[46:47]
	v_pk_add_f32 v[100:101], v[46:47], v[30:31] neg_lo:[0,1] neg_hi:[0,1]
	v_pk_fma_f32 v[154:155], v[114:115], s[42:43], v[154:155] op_sel:[1,0,0]
	v_pk_add_f32 v[140:141], v[140:141], v[148:149]
	v_mov_b32_e32 v70, v94
	v_mov_b32_e32 v71, v101
	v_pk_add_f32 v[140:141], v[140:141], v[154:155]
	v_pk_fma_f32 v[122:123], v[122:123], s[20:21], v[160:161] op_sel:[1,0,0]
	v_pk_mul_f32 v[72:73], v[70:71], s[6:7]
	ds_write2_b32 v4, v141, v140 offset0:6 offset1:7
	v_pk_fma_f32 v[140:141], v[98:99], s[26:27], v[142:143] op_sel:[1,0,0]
	v_pk_add_f32 v[122:123], v[122:123], v[40:41] op_sel_hi:[1,0]
	v_mov_b32_e32 v25, v72
	v_pk_fma_f32 v[124:125], v[124:125], s[28:29], v[146:147] op_sel:[1,0,0]
	v_pk_add_f32 v[122:123], v[122:123], v[140:141]
	v_pk_fma_f32 v[128:129], v[70:71], s[6:7], v[24:25] neg_lo:[1,0,0] neg_hi:[1,0,0]
	v_mov_b32_e32 v70, v126
	v_mov_b32_e32 v71, v121
	v_pk_fma_f32 v[142:143], v[110:111], s[2:3], v[152:153] op_sel:[1,0,0]
	v_pk_add_f32 v[122:123], v[122:123], v[124:125]
	v_add_f32_e32 v46, v73, v72
	v_pk_mul_f32 v[72:73], v[70:71], s[8:9]
	v_pk_fma_f32 v[144:145], v[114:115], s[30:31], v[156:157] op_sel:[1,0,0]
	v_pk_add_f32 v[122:123], v[122:123], v[142:143]
	v_mov_b32_e32 v25, v72
	v_pk_add_f32 v[96:97], v[32:33], v[44:45]
	v_pk_add_f32 v[104:105], v[44:45], v[32:33] neg_lo:[0,1] neg_hi:[0,1]
	v_pk_add_f32 v[122:123], v[122:123], v[144:145]
	s_waitcnt vmcnt(0)
	v_mov_b32_e32 v133, v28
	v_pk_add_f32 v[118:119], v[66:67], v[28:29] neg_lo:[0,1] neg_hi:[0,1]
	v_pk_fma_f32 v[134:135], v[70:71], s[8:9], v[24:25] neg_lo:[1,0,0] neg_hi:[1,0,0]
	v_mov_b32_e32 v70, v96
	v_mov_b32_e32 v71, v105
	;; [unrolled: 1-line block ×3, first 2 shown]
	ds_write2_b32 v4, v123, v122 offset0:8 offset1:9
	ds_write_b32 v4, v52 offset:40
	v_pk_add_f32 v[122:123], v[132:133], v[36:37]
	v_mul_f32_e32 v131, 0xbf0a6770, v119
	v_add_f32_e32 v68, v73, v72
	v_pk_mul_f32 v[72:73], v[70:71], s[12:13]
	v_mov_b32_e32 v116, v44
	v_pk_add_f32 v[124:125], v[122:123], v[44:45]
	v_mov_b32_e32 v130, v38
	v_mov_b32_e32 v25, v72
	v_pk_add_f32 v[102:103], v[34:35], v[38:39]
	v_pk_add_f32 v[106:107], v[38:39], v[34:35] neg_lo:[0,1] neg_hi:[0,1]
	v_pk_add_f32 v[124:125], v[124:125], v[38:39]
	v_pk_fma_f32 v[130:131], v[122:123], v[116:117], v[130:131] neg_lo:[0,0,1] neg_hi:[0,0,1]
	v_pk_fma_f32 v[136:137], v[70:71], s[12:13], v[24:25] neg_lo:[1,0,0] neg_hi:[1,0,0]
	v_mov_b32_e32 v70, v102
	v_mov_b32_e32 v71, v107
	;; [unrolled: 1-line block ×5, first 2 shown]
	v_add_f32_e32 v134, v73, v72
	v_pk_mul_f32 v[72:73], v[70:71], s[10:11]
	v_pk_add_f32 v[124:125], v[124:125], v[130:131]
	v_mov_b32_e32 v128, v32
	v_mov_b32_e32 v25, v72
	v_pk_add_f32 v[124:125], v[128:129], v[124:125]
	v_mov_b32_e32 v43, v135
	v_pk_fma_f32 v[138:139], v[70:71], s[10:11], v[24:25] neg_lo:[1,0,0] neg_hi:[1,0,0]
	v_pk_mul_f32 v[132:133], v[122:123], v[116:117]
	v_pk_add_f32 v[124:125], v[42:43], v[124:125]
	v_mov_b32_e32 v136, v30
	v_fmac_f32_e32 v133, 0xbf0a6770, v119
	v_pk_add_f32 v[124:125], v[136:137], v[124:125]
	v_mov_b32_e32 v138, v28
	v_add_u32_e32 v56, 0x974, v4
	v_add_f32_e32 v34, v133, v26
	v_pk_add_f32 v[124:125], v[138:139], v[124:125]
	v_pk_mul_f32 v[142:143], v[122:123], s[24:25] op_sel:[1,0]
	v_add_f32_e32 v32, v34, v46
	ds_write2_b32 v56, v124, v125 offset1:1
	v_pk_mul_f32 v[124:125], v[94:95], s[16:17] op_sel_hi:[0,1]
	v_pk_fma_f32 v[144:145], v[118:119], s[20:21], v[142:143] op_sel:[1,0,0] neg_lo:[1,0,0] neg_hi:[1,0,0]
	v_add_f32_e32 v32, v32, v68
	v_pk_fma_f32 v[128:129], v[100:101], s[26:27], v[124:125] op_sel:[1,0,0] neg_lo:[1,0,0] neg_hi:[1,0,0]
	v_pk_mul_f32 v[130:131], v[126:127], s[18:19] op_sel_hi:[0,1]
	v_pk_add_f32 v[144:145], v[144:145], v[26:27] op_sel_hi:[1,0]
	v_add_f32_e32 v30, v32, v134
	v_pk_fma_f32 v[132:133], v[120:121], s[28:29], v[130:131] op_sel:[1,0,0] neg_lo:[1,0,0] neg_hi:[1,0,0]
	v_pk_mul_f32 v[134:135], v[96:97], s[14:15] op_sel_hi:[0,1]
	v_pk_add_f32 v[128:129], v[144:145], v[128:129]
	v_pk_fma_f32 v[136:137], v[104:105], s[2:3], v[134:135] op_sel:[1,0,0] neg_lo:[1,0,0] neg_hi:[1,0,0]
	v_pk_mul_f32 v[138:139], v[102:103], s[22:23] op_sel_hi:[0,1]
	v_pk_add_f32 v[128:129], v[128:129], v[132:133]
	v_pk_fma_f32 v[140:141], v[106:107], s[30:31], v[138:139] op_sel:[1,0,0] neg_lo:[1,0,0] neg_hi:[1,0,0]
	v_pk_add_f32 v[128:129], v[128:129], v[136:137]
	v_add_u32_e32 v60, 0x97c, v4
	v_pk_add_f32 v[128:129], v[128:129], v[140:141]
	v_pk_mul_f32 v[122:123], v[122:123], s[16:17] op_sel:[1,0]
	ds_write2_b32 v60, v128, v129 offset1:1
	v_pk_mul_f32 v[128:129], v[94:95], s[14:15] op_sel_hi:[0,1]
	v_pk_fma_f32 v[150:151], v[118:119], s[34:35], v[122:123] op_sel:[1,0,0] neg_lo:[1,0,0] neg_hi:[1,0,0]
	v_pk_fma_f32 v[132:133], v[100:101], s[36:37], v[128:129] op_sel:[1,0,0] neg_lo:[1,0,0] neg_hi:[1,0,0]
	v_pk_mul_f32 v[126:127], v[126:127], s[22:23] op_sel_hi:[0,1]
	v_pk_add_f32 v[150:151], v[150:151], v[26:27] op_sel_hi:[1,0]
	v_pk_fma_f32 v[136:137], v[120:121], s[40:41], v[126:127] op_sel:[1,0,0] neg_lo:[1,0,0] neg_hi:[1,0,0]
	v_pk_mul_f32 v[140:141], v[96:97], s[18:19] op_sel_hi:[0,1]
	v_pk_add_f32 v[132:133], v[150:151], v[132:133]
	v_pk_fma_f32 v[144:145], v[104:105], s[38:39], v[140:141] op_sel:[1,0,0] neg_lo:[1,0,0] neg_hi:[1,0,0]
	v_pk_mul_f32 v[146:147], v[102:103], s[24:25] op_sel_hi:[0,1]
	v_pk_add_f32 v[132:133], v[132:133], v[136:137]
	v_pk_fma_f32 v[122:123], v[118:119], s[34:35], v[122:123] op_sel:[1,0,0]
	v_pk_fma_f32 v[148:149], v[106:107], s[42:43], v[146:147] op_sel:[1,0,0] neg_lo:[1,0,0] neg_hi:[1,0,0]
	v_pk_add_f32 v[132:133], v[132:133], v[144:145]
	v_pk_fma_f32 v[128:129], v[100:101], s[36:37], v[128:129] op_sel:[1,0,0]
	v_pk_add_f32 v[122:123], v[122:123], v[26:27] op_sel_hi:[1,0]
	v_add_u32_e32 v63, 0x984, v4
	v_pk_add_f32 v[132:133], v[132:133], v[148:149]
	v_pk_fma_f32 v[126:127], v[120:121], s[40:41], v[126:127] op_sel:[1,0,0]
	v_pk_add_f32 v[122:123], v[122:123], v[128:129]
	ds_write2_b32 v63, v132, v133 offset1:1
	v_pk_fma_f32 v[132:133], v[104:105], s[38:39], v[140:141] op_sel:[1,0,0]
	v_pk_add_f32 v[122:123], v[122:123], v[126:127]
	v_pk_fma_f32 v[136:137], v[106:107], s[42:43], v[146:147] op_sel:[1,0,0]
	v_pk_add_f32 v[122:123], v[122:123], v[132:133]
	v_add_u32_e32 v64, 0x98c, v4
	v_pk_add_f32 v[122:123], v[122:123], v[136:137]
	v_pk_fma_f32 v[118:119], v[118:119], s[20:21], v[142:143] op_sel:[1,0,0]
	ds_write2_b32 v64, v123, v122 offset1:1
	v_pk_fma_f32 v[122:123], v[100:101], s[26:27], v[124:125] op_sel:[1,0,0]
	v_pk_add_f32 v[118:119], v[118:119], v[26:27] op_sel_hi:[1,0]
	v_pk_fma_f32 v[120:121], v[120:121], s[28:29], v[130:131] op_sel:[1,0,0]
	v_pk_add_f32 v[118:119], v[118:119], v[122:123]
	v_pk_fma_f32 v[124:125], v[104:105], s[2:3], v[134:135] op_sel:[1,0,0]
	v_pk_add_f32 v[118:119], v[118:119], v[120:121]
	v_mov_b32_e32 v79, v16
	v_pk_fma_f32 v[126:127], v[106:107], s[30:31], v[138:139] op_sel:[1,0,0]
	v_pk_add_f32 v[118:119], v[118:119], v[124:125]
	v_add_f32_e32 v164, v73, v72
	v_mov_b32_e32 v25, v24
	v_pk_add_f32 v[74:75], v[22:23], v[8:9]
	v_pk_add_f32 v[88:89], v[22:23], v[8:9] neg_lo:[0,1] neg_hi:[0,1]
	v_pk_add_f32 v[76:77], v[78:79], v[10:11]
	v_pk_add_f32 v[86:87], v[78:79], v[10:11] neg_lo:[0,1] neg_hi:[0,1]
	;; [unrolled: 2-line block ×4, first 2 shown]
	v_add_u32_e32 v68, 0x994, v4
	v_pk_add_f32 v[118:119], v[118:119], v[126:127]
	v_cmp_gt_u32_e32 vcc, 15, v0
	v_add_f32_e32 v30, v30, v164
	v_mov_b32_e32 v32, v119
	v_mov_b32_e32 v43, v118
	ds_write2_b32 v68, v119, v118 offset1:1
	ds_write_b32 v4, v30 offset:2460
	s_and_saveexec_b64 s[44:45], vcc
	s_cbranch_execz .LBB0_15
; %bb.14:
	v_mov_b32_e32 v122, v74
	v_mov_b32_e32 v123, v89
	v_pk_mul_f32 v[128:129], v[122:123], s[6:7]
	v_mov_b32_e32 v130, v76
	v_mov_b32_e32 v131, v87
	;; [unrolled: 1-line block ×3, first 2 shown]
	v_pk_mul_f32 v[132:133], v[130:131], s[8:9]
	v_mov_b32_e32 v43, v128
	v_mov_b32_e32 v20, v1
	v_add_f32_e32 v32, v133, v132
	v_pk_fma_f32 v[122:123], v[122:123], s[6:7], v[42:43] neg_lo:[1,0,0] neg_hi:[1,0,0]
	v_mov_b32_e32 v43, v132
	v_pk_add_f32 v[132:133], v[20:21], v[12:13]
	v_mov_b32_e32 v79, v24
	v_pk_add_f32 v[132:133], v[132:133], v[22:23]
	v_pk_add_f32 v[120:121], v[12:13], v[16:17] neg_lo:[0,1] neg_hi:[0,1]
	v_mov_b32_e32 v133, v12
	v_pk_add_f32 v[78:79], v[132:133], v[78:79]
	v_mul_f32_e32 v127, 0xbf0a6770, v121
	v_mov_b32_e32 v116, v18
	v_pk_add_f32 v[132:133], v[78:79], v[18:19]
	v_mov_b32_e32 v126, v14
	v_mov_b32_e32 v124, v70
	;; [unrolled: 1-line block ×3, first 2 shown]
	v_mul_f32_e32 v18, 0x3f575c64, v79
	v_pk_add_f32 v[132:133], v[132:133], v[14:15]
	v_pk_fma_f32 v[126:127], v[78:79], v[116:117], v[126:127] neg_lo:[0,0,1] neg_hi:[0,0,1]
	v_mov_b32_e32 v119, v1
	v_pk_mul_f32 v[134:135], v[124:125], s[12:13]
	v_mov_b32_e32 v136, v72
	v_mov_b32_e32 v137, v81
	v_fmac_f32_e32 v18, 0xbf0a6770, v121
	v_mov_b32_e32 v133, v127
	v_add_f32_e32 v30, v129, v128
	v_pk_mul_f32 v[138:139], v[136:137], s[10:11]
	v_pk_fma_f32 v[128:129], v[130:131], s[8:9], v[42:43] neg_lo:[1,0,0] neg_hi:[1,0,0]
	v_mov_b32_e32 v43, v134
	v_add_f32_e32 v1, v1, v18
	v_pk_add_f32 v[126:127], v[132:133], v[118:119]
	v_mov_b32_e32 v122, v6
	v_pk_fma_f32 v[124:125], v[124:125], s[12:13], v[42:43] neg_lo:[1,0,0] neg_hi:[1,0,0]
	v_mov_b32_e32 v43, v138
	v_add_f32_e32 v1, v1, v30
	v_pk_add_f32 v[122:123], v[122:123], v[126:127]
	v_mov_b32_e32 v128, v10
	v_add_f32_e32 v34, v135, v134
	v_pk_fma_f32 v[130:131], v[136:137], s[10:11], v[42:43] neg_lo:[1,0,0] neg_hi:[1,0,0]
	v_add_f32_e32 v1, v1, v32
	v_pk_add_f32 v[122:123], v[128:129], v[122:123]
	v_mov_b32_e32 v124, v8
	v_add_f32_e32 v38, v139, v138
	v_add_f32_e32 v1, v1, v34
	v_pk_add_f32 v[122:123], v[124:125], v[122:123]
	v_mov_b32_e32 v130, v24
	v_add_f32_e32 v18, v1, v38
	v_pk_add_f32 v[122:123], v[130:131], v[122:123]
	v_add_u32_e32 v1, 0x12e8, v4
	v_pk_mul_f32 v[138:139], v[78:79], s[24:25] op_sel:[1,0]
	ds_write2_b32 v1, v122, v123 offset1:1
	v_pk_mul_f32 v[122:123], v[74:75], s[16:17] op_sel_hi:[0,1]
	v_pk_fma_f32 v[140:141], v[120:121], s[20:21], v[138:139] op_sel:[1,0,0] neg_lo:[1,0,0] neg_hi:[1,0,0]
	v_pk_mul_f32 v[124:125], v[76:77], s[18:19] op_sel_hi:[0,1]
	v_pk_fma_f32 v[130:131], v[88:89], s[26:27], v[122:123] op_sel:[1,0,0] neg_lo:[1,0,0] neg_hi:[1,0,0]
	v_pk_add_f32 v[140:141], v[118:119], v[140:141] op_sel:[1,0]
	v_pk_mul_f32 v[126:127], v[70:71], s[14:15] op_sel_hi:[0,1]
	v_pk_fma_f32 v[132:133], v[86:87], s[28:29], v[124:125] op_sel:[1,0,0] neg_lo:[1,0,0] neg_hi:[1,0,0]
	v_pk_add_f32 v[130:131], v[140:141], v[130:131]
	v_pk_mul_f32 v[128:129], v[72:73], s[22:23] op_sel_hi:[0,1]
	v_pk_fma_f32 v[134:135], v[82:83], s[2:3], v[126:127] op_sel:[1,0,0] neg_lo:[1,0,0] neg_hi:[1,0,0]
	v_pk_add_f32 v[130:131], v[130:131], v[132:133]
	v_pk_fma_f32 v[136:137], v[80:81], s[30:31], v[128:129] op_sel:[1,0,0] neg_lo:[1,0,0] neg_hi:[1,0,0]
	v_pk_add_f32 v[130:131], v[130:131], v[134:135]
	v_add_u32_e32 v1, 0x12f0, v4
	v_pk_add_f32 v[130:131], v[130:131], v[136:137]
	v_pk_mul_f32 v[78:79], v[78:79], s[16:17] op_sel:[1,0]
	ds_write2_b32 v1, v130, v131 offset1:1
	v_pk_mul_f32 v[130:131], v[74:75], s[14:15] op_sel_hi:[0,1]
	v_pk_fma_f32 v[148:149], v[120:121], s[34:35], v[78:79] op_sel:[1,0,0] neg_lo:[1,0,0] neg_hi:[1,0,0]
	v_pk_fma_f32 v[78:79], v[120:121], s[34:35], v[78:79] op_sel:[1,0,0]
	v_pk_mul_f32 v[132:133], v[76:77], s[22:23] op_sel_hi:[0,1]
	v_pk_fma_f32 v[140:141], v[88:89], s[36:37], v[130:131] op_sel:[1,0,0] neg_lo:[1,0,0] neg_hi:[1,0,0]
	v_pk_fma_f32 v[130:131], v[88:89], s[36:37], v[130:131] op_sel:[1,0,0]
	v_pk_add_f32 v[78:79], v[118:119], v[78:79] op_sel:[1,0]
	v_pk_mul_f32 v[134:135], v[70:71], s[18:19] op_sel_hi:[0,1]
	v_pk_fma_f32 v[142:143], v[86:87], s[40:41], v[132:133] op_sel:[1,0,0] neg_lo:[1,0,0] neg_hi:[1,0,0]
	v_pk_fma_f32 v[132:133], v[86:87], s[40:41], v[132:133] op_sel:[1,0,0]
	v_pk_add_f32 v[78:79], v[78:79], v[130:131]
	v_pk_mul_f32 v[136:137], v[72:73], s[24:25] op_sel_hi:[0,1]
	v_pk_fma_f32 v[144:145], v[82:83], s[38:39], v[134:135] op_sel:[1,0,0] neg_lo:[1,0,0] neg_hi:[1,0,0]
	v_pk_fma_f32 v[134:135], v[82:83], s[38:39], v[134:135] op_sel:[1,0,0]
	v_pk_add_f32 v[78:79], v[78:79], v[132:133]
	v_pk_fma_f32 v[146:147], v[80:81], s[42:43], v[136:137] op_sel:[1,0,0] neg_lo:[1,0,0] neg_hi:[1,0,0]
	v_pk_fma_f32 v[136:137], v[80:81], s[42:43], v[136:137] op_sel:[1,0,0]
	v_pk_add_f32 v[78:79], v[78:79], v[134:135]
	v_add_u32_e32 v8, 0x1300, v4
	v_pk_add_f32 v[78:79], v[78:79], v[136:137]
	v_pk_fma_f32 v[120:121], v[120:121], s[20:21], v[138:139] op_sel:[1,0,0]
	v_pk_add_f32 v[148:149], v[118:119], v[148:149] op_sel:[1,0]
	ds_write2_b32 v8, v79, v78 offset1:1
	v_pk_fma_f32 v[78:79], v[88:89], s[26:27], v[122:123] op_sel:[1,0,0]
	v_pk_add_f32 v[118:119], v[118:119], v[120:121] op_sel:[1,0]
	v_pk_add_f32 v[140:141], v[148:149], v[140:141]
	v_pk_fma_f32 v[122:123], v[86:87], s[28:29], v[124:125] op_sel:[1,0,0]
	v_pk_add_f32 v[78:79], v[118:119], v[78:79]
	v_pk_add_f32 v[140:141], v[140:141], v[142:143]
	v_pk_fma_f32 v[124:125], v[82:83], s[2:3], v[126:127] op_sel:[1,0,0]
	v_pk_add_f32 v[78:79], v[78:79], v[122:123]
	;; [unrolled: 3-line block ×3, first 2 shown]
	v_pk_add_f32 v[140:141], v[140:141], v[146:147]
	v_add_u32_e32 v1, 0x12f8, v4
	v_pk_add_f32 v[78:79], v[78:79], v[126:127]
	v_add_u32_e32 v8, 0x1308, v4
	ds_write2_b32 v1, v140, v141 offset1:1
	v_mov_b32_e32 v6, v79
	v_mov_b32_e32 v1, v78
	ds_write2_b32 v8, v79, v78 offset1:1
	ds_write_b32 v4, v18 offset:4880
.LBB0_15:
	s_or_b64 exec, exec, s[44:45]
	v_mov_b32_e32 v118, v93
	v_mov_b32_e32 v119, v98
	v_add_f32_e32 v1, v41, v85
	v_mov_b32_e32 v6, v59
	v_pk_mul_f32 v[120:121], v[118:119], s[6:7]
	v_pk_add_f32 v[78:79], v[6:7], v[48:49] neg_lo:[0,1] neg_hi:[0,1]
	v_add_f32_e32 v48, v1, v65
	v_mov_b32_e32 v1, v120
	v_sub_f32_e32 v6, v120, v121
	v_mov_b32_e32 v120, v91
	v_mov_b32_e32 v121, v58
	;; [unrolled: 1-line block ×4, first 2 shown]
	v_pk_add_f32 v[124:125], v[120:121], v[122:123]
	v_pk_add_f32 v[120:121], v[120:121], v[122:123] neg_lo:[0,1] neg_hi:[0,1]
	v_mov_b32_e32 v122, v124
	v_mov_b32_e32 v123, v121
	v_pk_mul_f32 v[126:127], v[122:123], s[8:9]
	v_pk_fma_f32 v[118:119], v[118:119], s[6:7], v[0:1]
	v_mov_b32_e32 v1, v126
	v_sub_f32_e32 v8, v126, v127
	v_mov_b32_e32 v126, v109
	v_mov_b32_e32 v127, v110
	v_pk_add_f32 v[84:85], v[48:49], v[84:85]
	v_mov_b32_e32 v116, v53
	v_pk_mul_f32 v[128:129], v[126:127], s[12:13]
	v_pk_add_f32 v[52:53], v[84:85], v[116:117]
	v_pk_mul_f32 v[130:131], v[84:85], v[116:117]
	v_mul_f32_e32 v59, 0xbf0a6770, v78
	v_pk_fma_f32 v[122:123], v[122:123], s[8:9], v[0:1]
	v_mov_b32_e32 v1, v128
	v_mov_b32_e32 v53, v131
	v_fmac_f32_e32 v131, 0x3f0a6770, v78
	v_mov_b32_e32 v58, v55
	v_pk_fma_f32 v[126:127], v[126:127], s[12:13], v[0:1]
	v_mov_b32_e32 v50, v51
	v_mov_b32_e32 v51, v41
	v_add_f32_e32 v1, v131, v41
	v_pk_add_f32 v[52:53], v[52:53], v[58:59]
	v_add_f32_e32 v1, v1, v6
	v_pk_add_f32 v[50:51], v[52:53], v[50:51]
	v_mov_b32_e32 v52, v113
	v_mov_b32_e32 v53, v114
	;; [unrolled: 1-line block ×3, first 2 shown]
	v_add_f32_e32 v1, v1, v8
	v_sub_f32_e32 v6, v128, v129
	v_pk_mul_f32 v[54:55], v[52:53], s[10:11]
	v_mov_b32_e32 v122, v91
	v_add_f32_e32 v6, v1, v6
	v_pk_add_f32 v[50:51], v[118:119], v[50:51]
	v_mov_b32_e32 v1, v54
	v_mov_b32_e32 v126, v57
	v_pk_add_f32 v[50:51], v[122:123], v[50:51]
	v_pk_fma_f32 v[52:53], v[52:53], s[10:11], v[0:1]
	v_pk_add_f32 v[50:51], v[126:127], v[50:51]
	v_mov_b32_e32 v52, v49
	v_pk_mul_f32 v[48:49], v[78:79], s[20:21] op_sel_hi:[0,1]
	v_pk_add_f32 v[58:59], v[52:53], v[50:51]
	v_pk_mul_f32 v[50:51], v[98:99], s[26:27] op_sel_hi:[0,1]
	v_pk_fma_f32 v[118:119], v[84:85], s[24:25], v[48:49] op_sel:[1,0,0]
	v_sub_f32_e32 v1, v54, v55
	v_pk_fma_f32 v[52:53], v[92:93], s[16:17], v[50:51] op_sel:[1,0,0]
	v_pk_mul_f32 v[54:55], v[120:121], s[28:29] op_sel:[1,0]
	v_pk_add_f32 v[118:119], v[118:119], v[40:41] op_sel:[0,1]
	v_pk_fma_f32 v[90:91], v[124:125], s[18:19], v[54:55] op_sel_hi:[0,1,1]
	v_pk_add_f32 v[52:53], v[118:119], v[52:53]
	v_pk_fma_f32 v[48:49], v[84:85], s[24:25], v[48:49] op_sel:[1,0,0] neg_lo:[0,0,1] neg_hi:[0,0,1]
	v_pk_add_f32 v[52:53], v[52:53], v[90:91]
	v_pk_mul_f32 v[90:91], v[110:111], s[2:3] op_sel_hi:[0,1]
	v_pk_fma_f32 v[118:119], v[108:109], s[14:15], v[90:91] op_sel:[1,0,0]
	v_pk_fma_f32 v[50:51], v[92:93], s[16:17], v[50:51] op_sel:[1,0,0] neg_lo:[0,0,1] neg_hi:[0,0,1]
	v_pk_add_f32 v[52:53], v[52:53], v[118:119]
	v_pk_mul_f32 v[118:119], v[114:115], s[30:31] op_sel_hi:[0,1]
	v_pk_fma_f32 v[122:123], v[112:113], s[22:23], v[118:119] op_sel:[1,0,0]
	v_pk_add_f32 v[48:49], v[48:49], v[40:41] op_sel:[0,1]
	v_pk_add_f32 v[122:123], v[52:53], v[122:123]
	v_pk_fma_f32 v[52:53], v[124:125], s[18:19], v[54:55] op_sel_hi:[0,1,1] neg_lo:[0,0,1] neg_hi:[0,0,1]
	v_pk_add_f32 v[48:49], v[48:49], v[50:51]
	v_pk_fma_f32 v[50:51], v[108:109], s[14:15], v[90:91] op_sel:[1,0,0] neg_lo:[0,0,1] neg_hi:[0,0,1]
	v_pk_add_f32 v[48:49], v[48:49], v[52:53]
	v_pk_mul_f32 v[54:55], v[120:121], s[40:41] op_sel:[1,0]
	v_pk_add_f32 v[48:49], v[48:49], v[50:51]
	v_pk_fma_f32 v[50:51], v[112:113], s[22:23], v[118:119] op_sel:[1,0,0] neg_lo:[0,0,1] neg_hi:[0,0,1]
	v_add_f32_e32 v8, v6, v1
	v_pk_add_f32 v[90:91], v[48:49], v[50:51]
	v_pk_mul_f32 v[48:49], v[78:79], s[34:35] op_sel_hi:[0,1]
	v_pk_mul_f32 v[50:51], v[98:99], s[36:37] op_sel_hi:[0,1]
	v_pk_fma_f32 v[98:99], v[84:85], s[16:17], v[48:49] op_sel:[1,0,0]
	v_pk_fma_f32 v[52:53], v[92:93], s[14:15], v[50:51] op_sel:[1,0,0]
	v_pk_add_f32 v[98:99], v[98:99], v[40:41] op_sel:[0,1]
	v_pk_fma_f32 v[78:79], v[124:125], s[22:23], v[54:55] op_sel_hi:[0,1,1]
	v_pk_add_f32 v[52:53], v[98:99], v[52:53]
	v_pk_fma_f32 v[48:49], v[84:85], s[16:17], v[48:49] op_sel:[1,0,0] neg_lo:[0,0,1] neg_hi:[0,0,1]
	v_pk_add_f32 v[52:53], v[52:53], v[78:79]
	v_pk_mul_f32 v[78:79], v[110:111], s[38:39] op_sel_hi:[0,1]
	v_pk_fma_f32 v[98:99], v[108:109], s[18:19], v[78:79] op_sel:[1,0,0]
	v_pk_fma_f32 v[50:51], v[92:93], s[14:15], v[50:51] op_sel:[1,0,0] neg_lo:[0,0,1] neg_hi:[0,0,1]
	v_pk_add_f32 v[52:53], v[52:53], v[98:99]
	v_pk_mul_f32 v[98:99], v[114:115], s[42:43] op_sel_hi:[0,1]
	v_pk_fma_f32 v[110:111], v[112:113], s[24:25], v[98:99] op_sel:[1,0,0]
	v_pk_add_f32 v[40:41], v[48:49], v[40:41] op_sel:[0,1]
	v_pk_add_f32 v[110:111], v[52:53], v[110:111]
	v_pk_fma_f32 v[52:53], v[124:125], s[22:23], v[54:55] op_sel_hi:[0,1,1] neg_lo:[0,0,1] neg_hi:[0,0,1]
	v_pk_add_f32 v[40:41], v[40:41], v[50:51]
	v_pk_fma_f32 v[48:49], v[108:109], s[18:19], v[78:79] op_sel:[1,0,0] neg_lo:[0,0,1] neg_hi:[0,0,1]
	v_pk_add_f32 v[40:41], v[40:41], v[52:53]
	v_add_f32_e32 v1, v27, v67
	v_pk_add_f32 v[40:41], v[40:41], v[48:49]
	v_pk_fma_f32 v[48:49], v[112:113], s[24:25], v[98:99] op_sel:[1,0,0] neg_lo:[0,0,1] neg_hi:[0,0,1]
	v_mov_b32_e32 v6, v37
	v_pk_add_f32 v[78:79], v[40:41], v[48:49]
	v_pk_add_f32 v[40:41], v[6:7], v[28:29] neg_lo:[0,1] neg_hi:[0,1]
	v_add_f32_e32 v28, v1, v47
	v_mov_b32_e32 v46, v95
	v_mov_b32_e32 v47, v100
	v_pk_mul_f32 v[48:49], v[46:47], s[6:7]
	v_mov_b32_e32 v50, v66
	v_mov_b32_e32 v1, v48
	v_sub_f32_e32 v6, v48, v49
	v_mov_b32_e32 v48, v69
	v_mov_b32_e32 v49, v36
	;; [unrolled: 1-line block ×3, first 2 shown]
	v_pk_add_f32 v[42:43], v[48:49], v[50:51]
	v_pk_add_f32 v[48:49], v[48:49], v[50:51] neg_lo:[0,1] neg_hi:[0,1]
	v_mov_b32_e32 v50, v42
	v_mov_b32_e32 v51, v49
	v_pk_mul_f32 v[52:53], v[50:51], s[8:9]
	v_pk_fma_f32 v[46:47], v[46:47], s[6:7], v[0:1]
	v_mov_b32_e32 v1, v52
	v_sub_f32_e32 v10, v52, v53
	v_mov_b32_e32 v52, v97
	v_mov_b32_e32 v53, v104
	v_pk_add_f32 v[66:67], v[28:29], v[66:67]
	v_mov_b32_e32 v116, v45
	v_pk_mul_f32 v[54:55], v[52:53], s[12:13]
	v_pk_add_f32 v[44:45], v[66:67], v[116:117]
	v_pk_mul_f32 v[84:85], v[66:67], v[116:117]
	v_pk_fma_f32 v[50:51], v[50:51], s[8:9], v[0:1]
	v_mov_b32_e32 v1, v54
	v_mov_b32_e32 v45, v85
	v_fmac_f32_e32 v85, 0x3f0a6770, v40
	v_mul_f32_e32 v37, 0xbf0a6770, v40
	v_pk_fma_f32 v[52:53], v[52:53], s[12:13], v[0:1]
	v_add_f32_e32 v1, v85, v27
	v_mov_b32_e32 v36, v39
	v_mov_b32_e32 v34, v35
	v_mov_b32_e32 v35, v27
	v_mov_b32_e32 v46, v33
	v_mov_b32_e32 v52, v31
	v_add_f32_e32 v1, v1, v6
	v_pk_add_f32 v[30:31], v[44:45], v[36:37]
	v_mov_b32_e32 v32, v103
	v_mov_b32_e32 v33, v106
	v_add_f32_e32 v1, v1, v10
	v_sub_f32_e32 v6, v54, v55
	v_pk_add_f32 v[30:31], v[30:31], v[34:35]
	v_pk_mul_f32 v[34:35], v[32:33], s[10:11]
	v_mov_b32_e32 v50, v69
	v_add_f32_e32 v6, v1, v6
	v_pk_add_f32 v[30:31], v[46:47], v[30:31]
	v_mov_b32_e32 v1, v34
	v_pk_add_f32 v[30:31], v[50:51], v[30:31]
	v_pk_fma_f32 v[32:33], v[32:33], s[10:11], v[0:1]
	v_pk_add_f32 v[30:31], v[52:53], v[30:31]
	v_mov_b32_e32 v32, v29
	v_pk_mul_f32 v[28:29], v[40:41], s[20:21] op_sel_hi:[0,1]
	v_pk_add_f32 v[84:85], v[32:33], v[30:31]
	v_pk_mul_f32 v[30:31], v[100:101], s[26:27] op_sel_hi:[0,1]
	v_pk_fma_f32 v[38:39], v[66:67], s[24:25], v[28:29] op_sel:[1,0,0]
	v_sub_f32_e32 v1, v34, v35
	v_pk_fma_f32 v[32:33], v[94:95], s[16:17], v[30:31] op_sel:[1,0,0]
	v_pk_mul_f32 v[34:35], v[48:49], s[28:29] op_sel:[1,0]
	v_pk_add_f32 v[38:39], v[38:39], v[26:27] op_sel:[0,1]
	v_pk_fma_f32 v[36:37], v[42:43], s[18:19], v[34:35] op_sel_hi:[0,1,1]
	v_pk_add_f32 v[32:33], v[38:39], v[32:33]
	v_pk_fma_f32 v[28:29], v[66:67], s[24:25], v[28:29] op_sel:[1,0,0] neg_lo:[0,0,1] neg_hi:[0,0,1]
	v_pk_add_f32 v[32:33], v[32:33], v[36:37]
	v_pk_mul_f32 v[36:37], v[104:105], s[2:3] op_sel_hi:[0,1]
	v_pk_fma_f32 v[38:39], v[96:97], s[14:15], v[36:37] op_sel:[1,0,0]
	v_pk_fma_f32 v[30:31], v[94:95], s[16:17], v[30:31] op_sel:[1,0,0] neg_lo:[0,0,1] neg_hi:[0,0,1]
	v_pk_add_f32 v[32:33], v[32:33], v[38:39]
	v_pk_mul_f32 v[38:39], v[106:107], s[30:31] op_sel_hi:[0,1]
	v_pk_fma_f32 v[44:45], v[102:103], s[22:23], v[38:39] op_sel:[1,0,0]
	v_pk_add_f32 v[28:29], v[28:29], v[26:27] op_sel:[0,1]
	v_pk_add_f32 v[92:93], v[32:33], v[44:45]
	v_pk_fma_f32 v[32:33], v[42:43], s[18:19], v[34:35] op_sel_hi:[0,1,1] neg_lo:[0,0,1] neg_hi:[0,0,1]
	v_pk_add_f32 v[28:29], v[28:29], v[30:31]
	v_pk_fma_f32 v[30:31], v[96:97], s[14:15], v[36:37] op_sel:[1,0,0] neg_lo:[0,0,1] neg_hi:[0,0,1]
	v_pk_add_f32 v[28:29], v[28:29], v[32:33]
	v_pk_mul_f32 v[34:35], v[48:49], s[40:41] op_sel:[1,0]
	v_pk_add_f32 v[28:29], v[28:29], v[30:31]
	v_pk_fma_f32 v[30:31], v[102:103], s[22:23], v[38:39] op_sel:[1,0,0] neg_lo:[0,0,1] neg_hi:[0,0,1]
	v_pk_fma_f32 v[36:37], v[42:43], s[22:23], v[34:35] op_sel_hi:[0,1,1]
	v_pk_add_f32 v[98:99], v[28:29], v[30:31]
	v_pk_mul_f32 v[28:29], v[40:41], s[34:35] op_sel_hi:[0,1]
	v_pk_mul_f32 v[30:31], v[100:101], s[36:37] op_sel_hi:[0,1]
	v_pk_fma_f32 v[38:39], v[66:67], s[16:17], v[28:29] op_sel:[1,0,0]
	v_pk_fma_f32 v[32:33], v[94:95], s[14:15], v[30:31] op_sel:[1,0,0]
	v_pk_add_f32 v[38:39], v[38:39], v[26:27] op_sel:[0,1]
	v_pk_fma_f32 v[28:29], v[66:67], s[16:17], v[28:29] op_sel:[1,0,0] neg_lo:[0,0,1] neg_hi:[0,0,1]
	v_pk_add_f32 v[32:33], v[38:39], v[32:33]
	v_pk_fma_f32 v[30:31], v[94:95], s[14:15], v[30:31] op_sel:[1,0,0] neg_lo:[0,0,1] neg_hi:[0,0,1]
	v_pk_add_f32 v[32:33], v[32:33], v[36:37]
	v_pk_mul_f32 v[36:37], v[104:105], s[38:39] op_sel_hi:[0,1]
	v_pk_fma_f32 v[38:39], v[96:97], s[18:19], v[36:37] op_sel:[1,0,0]
	v_pk_add_f32 v[26:27], v[28:29], v[26:27] op_sel:[0,1]
	v_pk_add_f32 v[32:33], v[32:33], v[38:39]
	v_pk_mul_f32 v[38:39], v[106:107], s[42:43] op_sel_hi:[0,1]
	v_pk_fma_f32 v[40:41], v[102:103], s[24:25], v[38:39] op_sel:[1,0,0]
	v_pk_add_f32 v[26:27], v[26:27], v[30:31]
	v_pk_add_f32 v[100:101], v[32:33], v[40:41]
	v_pk_fma_f32 v[32:33], v[42:43], s[22:23], v[34:35] op_sel_hi:[0,1,1] neg_lo:[0,0,1] neg_hi:[0,0,1]
	s_movk_i32 s2, 0xffd8
	v_add_f32_e32 v10, v6, v1
	v_pk_add_f32 v[26:27], v[26:27], v[32:33]
	v_pk_fma_f32 v[28:29], v[96:97], s[18:19], v[36:37] op_sel:[1,0,0] neg_lo:[0,0,1] neg_hi:[0,0,1]
	v_mad_i32_i24 v1, v0, s2, v4
	v_pk_add_f32 v[26:27], v[26:27], v[28:29]
	v_pk_fma_f32 v[28:29], v[102:103], s[24:25], v[38:39] op_sel:[1,0,0] neg_lo:[0,0,1] neg_hi:[0,0,1]
	v_add_u32_e32 v50, 0x200, v1
	v_add_u32_e32 v20, 0x800, v1
	;; [unrolled: 1-line block ×5, first 2 shown]
	v_pk_add_f32 v[66:67], v[26:27], v[28:29]
	s_waitcnt lgkmcnt(0)
	; wave barrier
	s_waitcnt lgkmcnt(0)
	ds_read2_b32 v[28:29], v1 offset1:55
	ds_read2_b32 v[26:27], v50 offset0:92 offset1:147
	ds_read2_b32 v[48:49], v20 offset0:38 offset1:93
	;; [unrolled: 1-line block ×10, first 2 shown]
	v_add_u32_e32 v54, 0xe00, v1
	ds_read2_b32 v[34:35], v54 offset0:94 offset1:149
	ds_read_b32 v18, v1 offset:5280
	v_add_u32_e32 v52, 0x6e, v0
	s_waitcnt lgkmcnt(0)
	; wave barrier
	s_waitcnt lgkmcnt(0)
	ds_write2_b32 v4, v58, v59 offset1:1
	ds_write2_b32 v4, v122, v123 offset0:2 offset1:3
	ds_write2_b32 v4, v110, v111 offset0:4 offset1:5
	;; [unrolled: 1-line block ×4, first 2 shown]
	ds_write_b32 v4, v8 offset:40
	ds_write2_b32 v56, v84, v85 offset1:1
	ds_write2_b32 v60, v92, v93 offset1:1
	;; [unrolled: 1-line block ×4, first 2 shown]
	v_mov_b32_e32 v6, v99
	ds_write2_b32 v68, v99, v98 offset1:1
	ds_write_b32 v4, v10 offset:2460
	s_and_saveexec_b64 s[2:3], vcc
	s_cbranch_execz .LBB0_17
; %bb.16:
	v_mov_b32_e32 v58, v75
	v_mov_b32_e32 v59, v88
	s_mov_b32 s7, 0xbf68dda4
	s_mov_b32 s6, 0x3ed4b147
	v_mov_b32_e32 v4, v21
	v_pk_mul_f32 v[60:61], v[58:59], s[6:7]
	v_pk_add_f32 v[56:57], v[4:5], v[12:13]
	v_mov_b32_e32 v21, v60
	v_sub_f32_e32 v8, v60, v61
	v_mov_b32_e32 v60, v77
	v_mov_b32_e32 v61, v86
	s_mov_b32 s11, 0xbf7d64f0
	s_mov_b32 s10, 0xbe11bafb
	v_pk_add_f32 v[22:23], v[56:57], v[22:23]
	v_pk_mul_f32 v[62:63], v[60:61], s[10:11]
	v_pk_add_f32 v[24:25], v[12:13], v[24:25] neg_lo:[0,1] neg_hi:[0,1]
	v_pk_fma_f32 v[58:59], v[58:59], s[6:7], v[20:21]
	v_mov_b32_e32 v21, v62
	v_sub_f32_e32 v10, v62, v63
	v_mov_b32_e32 v62, v71
	v_mov_b32_e32 v63, v82
	s_mov_b32 s15, 0xbf4178ce
	s_mov_b32 s14, 0xbf27a4f4
	v_mov_b32_e32 v12, v23
	v_pk_mul_f32 v[64:65], v[62:63], s[14:15]
	v_pk_add_f32 v[12:13], v[12:13], v[16:17]
	v_mov_b32_e32 v23, 0x3f575c64
	v_mov_b32_e32 v22, v19
	v_pk_fma_f32 v[60:61], v[60:61], s[10:11], v[20:21]
	v_mov_b32_e32 v21, v64
	v_pk_add_f32 v[66:67], v[12:13], v[22:23]
	v_pk_mul_f32 v[22:23], v[12:13], v[22:23]
	v_pk_fma_f32 v[62:63], v[62:63], s[14:15], v[20:21]
	v_mov_b32_e32 v67, v23
	v_fmac_f32_e32 v23, 0x3f0a6770, v24
	v_mul_f32_e32 v57, 0xbf0a6770, v24
	v_mov_b32_e32 v56, v15
	v_mov_b32_e32 v62, v9
	v_add_f32_e32 v9, v5, v23
	v_pk_add_f32 v[14:15], v[66:67], v[56:57]
	v_add_f32_e32 v8, v9, v8
	v_pk_add_f32 v[14:15], v[14:15], v[4:5]
	v_mov_b32_e32 v58, v7
	v_add_f32_e32 v8, v8, v10
	v_sub_f32_e32 v9, v64, v65
	v_pk_add_f32 v[6:7], v[58:59], v[14:15]
	v_add_f32_e32 v14, v8, v9
	v_mov_b32_e32 v8, v73
	v_mov_b32_e32 v9, v80
	s_mov_b32 s19, 0xbe903f40
	s_mov_b32 s18, 0xbf75a155
	v_mov_b32_e32 v60, v11
	v_pk_mul_f32 v[10:11], v[8:9], s[18:19]
	v_pk_add_f32 v[6:7], v[60:61], v[6:7]
	v_mov_b32_e32 v15, v10
	v_pk_fma_f32 v[8:9], v[8:9], s[18:19], v[14:15]
	v_pk_add_f32 v[6:7], v[62:63], v[6:7]
	v_mov_b32_e32 v8, v17
	v_pk_add_f32 v[6:7], v[8:9], v[6:7]
	v_sub_f32_e32 v8, v10, v11
	s_mov_b32 s20, s7
	s_mov_b32 s21, s11
	v_add_f32_e32 v19, v14, v8
	v_pk_mul_f32 v[8:9], v[24:25], s[20:21] op_sel_hi:[0,1]
	s_mov_b32 s23, 0x3e903f40
	s_mov_b32 s22, s15
	;; [unrolled: 1-line block ×5, first 2 shown]
	v_pk_mul_f32 v[10:11], v[88:89], s[22:23] op_sel_hi:[0,1]
	s_mov_b32 s27, 0x3f68dda4
	s_mov_b32 s26, s23
	v_pk_fma_f32 v[56:57], v[12:13], s[6:7], v[8:9] op_sel:[1,0,0]
	s_mov_b32 s8, 0x3f7d64f0
	v_pk_fma_f32 v[14:15], v[74:75], s[20:21], v[10:11] op_sel:[1,0,0]
	s_mov_b32 s24, s18
	s_mov_b32 s25, s6
	v_pk_mul_f32 v[16:17], v[86:87], s[26:27] op_sel_hi:[0,1]
	v_pk_add_f32 v[56:57], v[4:5], v[56:57] op_sel:[1,0]
	s_mov_b32 s9, 0xbf0a6770
	v_pk_fma_f32 v[22:23], v[76:77], s[24:25], v[16:17] op_sel:[1,0,0]
	v_pk_add_f32 v[14:15], v[56:57], v[14:15]
	v_pk_fma_f32 v[8:9], v[12:13], s[6:7], v[8:9] op_sel:[1,0,0] neg_lo:[0,0,1] neg_hi:[0,0,1]
	s_mov_b32 s13, 0x3f575c64
	v_pk_add_f32 v[14:15], v[14:15], v[22:23]
	s_mov_b32 s12, s10
	v_pk_mul_f32 v[22:23], v[82:83], s[8:9] op_sel_hi:[0,1]
	v_pk_fma_f32 v[10:11], v[74:75], s[20:21], v[10:11] op_sel:[1,0,0] neg_lo:[0,0,1] neg_hi:[0,0,1]
	v_pk_add_f32 v[8:9], v[4:5], v[8:9] op_sel:[1,0]
	s_mov_b32 s16, 0x3f0a6770
	v_pk_fma_f32 v[56:57], v[70:71], s[12:13], v[22:23] op_sel:[1,0,0]
	s_mov_b32 s17, s15
	v_pk_fma_f32 v[16:17], v[76:77], s[24:25], v[16:17] op_sel:[1,0,0] neg_lo:[0,0,1] neg_hi:[0,0,1]
	v_pk_add_f32 v[8:9], v[8:9], v[10:11]
	v_pk_add_f32 v[14:15], v[14:15], v[56:57]
	s_mov_b32 s22, s13
	s_mov_b32 s23, s14
	v_pk_mul_f32 v[56:57], v[80:81], s[16:17] op_sel_hi:[0,1]
	v_pk_add_f32 v[8:9], v[8:9], v[16:17]
	v_pk_fma_f32 v[10:11], v[70:71], s[12:13], v[22:23] op_sel:[1,0,0] neg_lo:[0,0,1] neg_hi:[0,0,1]
	s_mov_b32 s18, s15
	v_pk_add_f32 v[8:9], v[8:9], v[10:11]
	v_pk_fma_f32 v[10:11], v[72:73], s[22:23], v[56:57] op_sel:[1,0,0] neg_lo:[0,0,1] neg_hi:[0,0,1]
	v_pk_fma_f32 v[58:59], v[72:73], s[22:23], v[56:57] op_sel:[1,0,0]
	v_pk_add_f32 v[8:9], v[8:9], v[10:11]
	v_pk_mul_f32 v[10:11], v[24:25], s[18:19] op_sel_hi:[0,1]
	s_mov_b32 s28, s8
	s_mov_b32 s29, s16
	v_pk_add_f32 v[14:15], v[14:15], v[58:59]
	v_pk_mul_f32 v[16:17], v[88:89], s[28:29] op_sel_hi:[0,1]
	s_mov_b32 s14, s9
	v_pk_fma_f32 v[58:59], v[12:13], s[20:21], v[10:11] op_sel:[1,0,0]
	v_pk_fma_f32 v[22:23], v[74:75], s[12:13], v[16:17] op_sel:[1,0,0]
	v_pk_mul_f32 v[24:25], v[86:87], s[14:15] op_sel_hi:[0,1]
	v_pk_add_f32 v[58:59], v[4:5], v[58:59] op_sel:[1,0]
	v_pk_fma_f32 v[56:57], v[76:77], s[22:23], v[24:25] op_sel:[1,0,0]
	v_pk_add_f32 v[22:23], v[58:59], v[22:23]
	s_mov_b32 s26, s19
	v_pk_fma_f32 v[10:11], v[12:13], s[20:21], v[10:11] op_sel:[1,0,0] neg_lo:[0,0,1] neg_hi:[0,0,1]
	v_pk_add_f32 v[22:23], v[22:23], v[56:57]
	v_pk_mul_f32 v[56:57], v[82:83], s[26:27] op_sel_hi:[0,1]
	v_pk_fma_f32 v[16:17], v[74:75], s[12:13], v[16:17] op_sel:[1,0,0] neg_lo:[0,0,1] neg_hi:[0,0,1]
	v_pk_add_f32 v[4:5], v[4:5], v[10:11] op_sel:[1,0]
	v_pk_fma_f32 v[58:59], v[70:71], s[24:25], v[56:57] op_sel:[1,0,0]
	s_mov_b32 s10, s27
	v_pk_fma_f32 v[24:25], v[76:77], s[22:23], v[24:25] op_sel:[1,0,0] neg_lo:[0,0,1] neg_hi:[0,0,1]
	v_pk_add_f32 v[4:5], v[4:5], v[16:17]
	v_pk_add_f32 v[22:23], v[22:23], v[58:59]
	v_pk_mul_f32 v[58:59], v[80:81], s[10:11] op_sel_hi:[0,1]
	v_pk_add_f32 v[4:5], v[4:5], v[24:25]
	v_pk_fma_f32 v[10:11], v[70:71], s[24:25], v[56:57] op_sel:[1,0,0] neg_lo:[0,0,1] neg_hi:[0,0,1]
	v_pk_fma_f32 v[60:61], v[72:73], s[6:7], v[58:59] op_sel:[1,0,0]
	v_pk_add_f32 v[4:5], v[4:5], v[10:11]
	v_pk_fma_f32 v[10:11], v[72:73], s[6:7], v[58:59] op_sel:[1,0,0] neg_lo:[0,0,1] neg_hi:[0,0,1]
	v_pk_add_f32 v[22:23], v[22:23], v[60:61]
	v_pk_add_f32 v[4:5], v[4:5], v[10:11]
	v_mad_u32_u24 v10, v52, 44, 0
	ds_write2_b32 v10, v6, v7 offset1:1
	ds_write2_b32 v10, v14, v15 offset0:2 offset1:3
	ds_write2_b32 v10, v22, v23 offset0:4 offset1:5
	;; [unrolled: 1-line block ×4, first 2 shown]
	ds_write_b32 v10, v19 offset:40
.LBB0_17:
	s_or_b64 exec, exec, s[2:3]
	s_movk_i32 s2, 0x75
	v_mul_lo_u16_sdwa v4, v0, s2 dst_sel:DWORD dst_unused:UNUSED_PAD src0_sel:BYTE_0 src1_sel:DWORD
	v_sub_u16_sdwa v5, v0, v4 dst_sel:DWORD dst_unused:UNUSED_PAD src0_sel:DWORD src1_sel:BYTE_1
	v_lshrrev_b16_e32 v5, 1, v5
	v_and_b32_e32 v5, 0x7f, v5
	v_add_u16_sdwa v4, v5, v4 dst_sel:DWORD dst_unused:UNUSED_PAD src0_sel:DWORD src1_sel:BYTE_1
	v_lshrrev_b16_e32 v6, 3, v4
	v_mul_lo_u16_e32 v4, 11, v6
	v_sub_u16_e32 v11, v0, v4
	v_mov_b32_e32 v4, 5
	v_add_u32_e32 v63, 55, v0
	v_lshlrev_b32_sdwa v5, v4, v11 dst_sel:DWORD dst_unused:UNUSED_PAD src0_sel:DWORD src1_sel:BYTE_0
	s_waitcnt lgkmcnt(0)
	; wave barrier
	s_waitcnt lgkmcnt(0)
	global_load_dwordx4 v[22:25], v5, s[4:5] offset:16
	global_load_dwordx4 v[58:61], v5, s[4:5]
	v_mul_lo_u16_sdwa v5, v63, s2 dst_sel:DWORD dst_unused:UNUSED_PAD src0_sel:BYTE_0 src1_sel:DWORD
	v_sub_u16_sdwa v7, v63, v5 dst_sel:DWORD dst_unused:UNUSED_PAD src0_sel:DWORD src1_sel:BYTE_1
	v_lshrrev_b16_e32 v7, 1, v7
	v_and_b32_e32 v7, 0x7f, v7
	v_add_u16_sdwa v5, v7, v5 dst_sel:DWORD dst_unused:UNUSED_PAD src0_sel:DWORD src1_sel:BYTE_1
	v_lshrrev_b16_e32 v7, 3, v5
	v_mul_lo_u16_e32 v5, 11, v7
	v_sub_u16_e32 v19, v63, v5
	v_lshlrev_b32_sdwa v5, v4, v19 dst_sel:DWORD dst_unused:UNUSED_PAD src0_sel:DWORD src1_sel:BYTE_0
	global_load_dwordx4 v[64:67], v5, s[4:5]
	global_load_dwordx4 v[68:71], v5, s[4:5] offset:16
	v_mul_lo_u16_sdwa v5, v52, s2 dst_sel:DWORD dst_unused:UNUSED_PAD src0_sel:BYTE_0 src1_sel:DWORD
	v_sub_u16_sdwa v8, v52, v5 dst_sel:DWORD dst_unused:UNUSED_PAD src0_sel:DWORD src1_sel:BYTE_1
	v_lshrrev_b16_e32 v8, 1, v8
	v_and_b32_e32 v8, 0x7f, v8
	v_add_u16_sdwa v5, v8, v5 dst_sel:DWORD dst_unused:UNUSED_PAD src0_sel:DWORD src1_sel:BYTE_1
	v_lshrrev_b16_e32 v8, 3, v5
	v_mul_lo_u16_e32 v5, 11, v8
	v_sub_u16_e32 v21, v52, v5
	v_lshlrev_b32_sdwa v5, v4, v21 dst_sel:DWORD dst_unused:UNUSED_PAD src0_sel:DWORD src1_sel:BYTE_0
	v_add_u32_e32 v56, 0xa5, v0
	global_load_dwordx4 v[72:75], v5, s[4:5]
	global_load_dwordx4 v[76:79], v5, s[4:5] offset:16
	v_mul_lo_u16_sdwa v5, v56, s2 dst_sel:DWORD dst_unused:UNUSED_PAD src0_sel:BYTE_0 src1_sel:DWORD
	v_sub_u16_sdwa v9, v56, v5 dst_sel:DWORD dst_unused:UNUSED_PAD src0_sel:DWORD src1_sel:BYTE_1
	v_lshrrev_b16_e32 v9, 1, v9
	v_and_b32_e32 v9, 0x7f, v9
	v_add_u16_sdwa v5, v9, v5 dst_sel:DWORD dst_unused:UNUSED_PAD src0_sel:DWORD src1_sel:BYTE_1
	v_lshrrev_b16_e32 v9, 3, v5
	v_mul_lo_u16_e32 v5, 11, v9
	v_sub_u16_e32 v57, v56, v5
	v_lshlrev_b32_sdwa v4, v4, v57 dst_sel:DWORD dst_unused:UNUSED_PAD src0_sel:DWORD src1_sel:BYTE_0
	global_load_dwordx4 v[80:83], v4, s[4:5]
	global_load_dwordx4 v[84:87], v4, s[4:5] offset:16
	v_add_u32_e32 v62, 0xdc, v0
	s_mov_b32 s2, 0xba2f
	v_mul_u32_u24_sdwa v10, v62, s2 dst_sel:DWORD dst_unused:UNUSED_PAD src0_sel:WORD_0 src1_sel:DWORD
	v_lshrrev_b32_e32 v10, 19, v10
	v_mul_lo_u16_e32 v14, 11, v10
	v_sub_u16_e32 v112, v62, v14
	v_lshlrev_b32_e32 v14, 5, v112
	ds_read2_b32 v[12:13], v1 offset1:55
	ds_read2_b32 v[4:5], v50 offset0:92 offset1:147
	ds_read2_b32 v[16:17], v20 offset0:38 offset1:93
	;; [unrolled: 1-line block ×3, first 2 shown]
	global_load_dwordx4 v[88:91], v14, s[4:5] offset:16
	global_load_dwordx4 v[92:95], v14, s[4:5]
	ds_read2_b32 v[98:99], v53 offset0:76 offset1:131
	ds_read2_b32 v[100:101], v51 offset0:74 offset1:129
	;; [unrolled: 1-line block ×8, first 2 shown]
	ds_read_b32 v113, v1 offset:5280
	v_mov_b32_e32 v114, 2
	v_lshlrev_b32_sdwa v11, v114, v11 dst_sel:DWORD dst_unused:UNUSED_PAD src0_sel:DWORD src1_sel:BYTE_0
	v_mul_u32_u24_e32 v6, 0xdc, v6
	v_lshlrev_b32_sdwa v19, v114, v19 dst_sel:DWORD dst_unused:UNUSED_PAD src0_sel:DWORD src1_sel:BYTE_0
	v_lshlrev_b32_sdwa v21, v114, v21 dst_sel:DWORD dst_unused:UNUSED_PAD src0_sel:DWORD src1_sel:BYTE_0
	s_waitcnt lgkmcnt(0)
	; wave barrier
	s_waitcnt lgkmcnt(0)
	v_lshlrev_b32_sdwa v57, v114, v57 dst_sel:DWORD dst_unused:UNUSED_PAD src0_sel:DWORD src1_sel:BYTE_0
	s_movk_i32 s2, 0x95
	s_movk_i32 s3, 0x29e5
	s_mov_b32 s8, 0x3f167918
	s_mov_b32 s6, 0x3e9e377a
	s_waitcnt vmcnt(9)
	v_mul_f32_e32 v117, v97, v23
	s_waitcnt vmcnt(8)
	v_mul_f32_e32 v115, v5, v59
	v_mul_f32_e32 v59, v27, v59
	;; [unrolled: 1-line block ×7, first 2 shown]
	v_fma_f32 v27, v27, v58, -v115
	v_fmac_f32_e32 v59, v5, v58
	s_waitcnt vmcnt(7)
	v_mul_f32_e32 v119, v100, v65
	v_fma_f32 v5, v48, v60, -v116
	v_fmac_f32_e32 v61, v16, v60
	v_fma_f32 v16, v33, v22, -v117
	v_mul_f32_e32 v33, v44, v65
	v_fmac_f32_e32 v23, v97, v22
	v_fma_f32 v22, v46, v24, -v118
	v_fmac_f32_e32 v25, v98, v24
	v_fma_f32 v24, v44, v64, -v119
	v_fmac_f32_e32 v33, v100, v64
	v_mul_f32_e32 v44, v17, v67
	s_waitcnt vmcnt(5)
	v_mul_f32_e32 v58, v104, v75
	s_waitcnt vmcnt(4)
	v_mul_f32_e32 v60, v103, v77
	v_fma_f32 v58, v40, v74, -v58
	v_mul_f32_e32 v40, v40, v75
	v_fma_f32 v60, v43, v76, -v60
	v_mul_f32_e32 v43, v43, v77
	v_mul_f32_e32 v64, v106, v79
	v_add_f32_e32 v75, v5, v16
	v_fmac_f32_e32 v43, v103, v76
	v_fma_f32 v64, v38, v78, -v64
	s_waitcnt vmcnt(3)
	v_mul_f32_e32 v65, v108, v81
	v_mul_f32_e32 v38, v38, v79
	v_fma_f32 v65, v36, v80, -v65
	v_mul_f32_e32 v36, v36, v81
	v_fma_f32 v75, -0.5, v75, v28
	v_sub_f32_e32 v76, v59, v25
	v_fmac_f32_e32 v38, v106, v78
	v_fmac_f32_e32 v36, v108, v80
	v_fmamk_f32 v77, v76, 0x3f737871, v75
	v_sub_f32_e32 v78, v61, v23
	v_sub_f32_e32 v79, v27, v5
	;; [unrolled: 1-line block ×3, first 2 shown]
	v_fmac_f32_e32 v75, 0xbf737871, v76
	v_fmac_f32_e32 v77, 0x3f167918, v78
	v_add_f32_e32 v79, v79, v80
	v_fmac_f32_e32 v75, 0xbf167918, v78
	v_fmac_f32_e32 v77, 0x3e9e377a, v79
	v_fmac_f32_e32 v75, 0x3e9e377a, v79
	v_add_f32_e32 v79, v27, v22
	v_fmac_f32_e32 v40, v104, v74
	v_add_f32_e32 v74, v28, v27
	v_fma_f32 v28, -0.5, v79, v28
	v_fmamk_f32 v79, v78, 0xbf737871, v28
	v_fmac_f32_e32 v28, 0x3f737871, v78
	v_fmac_f32_e32 v79, 0x3f167918, v76
	;; [unrolled: 1-line block ×3, first 2 shown]
	v_add_f32_e32 v76, v12, v59
	v_mul_f32_e32 v46, v49, v67
	s_waitcnt vmcnt(2)
	v_mul_f32_e32 v67, v110, v85
	v_add_f32_e32 v76, v76, v61
	v_fma_f32 v67, v34, v84, -v67
	v_mul_f32_e32 v34, v34, v85
	v_add_f32_e32 v74, v74, v5
	v_add_f32_e32 v76, v76, v23
	v_fmac_f32_e32 v34, v110, v84
	v_add_f32_e32 v74, v74, v16
	v_add_f32_e32 v84, v76, v25
	;; [unrolled: 1-line block ×4, first 2 shown]
	v_sub_f32_e32 v81, v16, v22
	v_fma_f32 v85, -0.5, v76, v12
	v_sub_f32_e32 v22, v27, v22
	v_sub_f32_e32 v80, v5, v27
	v_fmamk_f32 v27, v22, 0xbf737871, v85
	v_sub_f32_e32 v5, v5, v16
	v_sub_f32_e32 v16, v59, v61
	v_sub_f32_e32 v76, v25, v23
	v_fmac_f32_e32 v85, 0x3f737871, v22
	v_fmac_f32_e32 v27, 0xbf167918, v5
	v_add_f32_e32 v16, v16, v76
	v_fmac_f32_e32 v85, 0x3f167918, v5
	v_fmac_f32_e32 v27, 0x3e9e377a, v16
	v_fmac_f32_e32 v85, 0x3e9e377a, v16
	v_add_f32_e32 v16, v59, v25
	v_fmac_f32_e32 v46, v17, v66
	v_mul_f32_e32 v17, v102, v69
	v_mul_f32_e32 v48, v99, v71
	v_fma_f32 v12, -0.5, v16, v12
	v_fma_f32 v44, v49, v66, -v44
	v_fma_f32 v17, v42, v68, -v17
	;; [unrolled: 1-line block ×3, first 2 shown]
	v_mul_f32_e32 v47, v47, v71
	v_fmamk_f32 v16, v5, 0x3f737871, v12
	v_sub_f32_e32 v59, v61, v59
	v_sub_f32_e32 v23, v23, v25
	v_fmac_f32_e32 v12, 0xbf737871, v5
	v_mul_f32_e32 v42, v42, v69
	v_fmac_f32_e32 v47, v99, v70
	v_fmac_f32_e32 v16, 0xbf167918, v22
	v_add_f32_e32 v23, v59, v23
	v_fmac_f32_e32 v12, 0x3f167918, v22
	v_add_f32_e32 v22, v44, v17
	v_fmac_f32_e32 v42, v102, v68
	v_fmac_f32_e32 v16, 0x3e9e377a, v23
	;; [unrolled: 1-line block ×3, first 2 shown]
	v_fma_f32 v22, -0.5, v22, v29
	v_sub_f32_e32 v23, v33, v47
	v_fmamk_f32 v25, v23, 0x3f737871, v22
	v_sub_f32_e32 v59, v46, v42
	v_sub_f32_e32 v61, v24, v44
	;; [unrolled: 1-line block ×3, first 2 shown]
	v_fmac_f32_e32 v22, 0xbf737871, v23
	v_fmac_f32_e32 v25, 0x3f167918, v59
	v_add_f32_e32 v61, v61, v76
	v_fmac_f32_e32 v22, 0xbf167918, v59
	v_fmac_f32_e32 v25, 0x3e9e377a, v61
	;; [unrolled: 1-line block ×3, first 2 shown]
	v_add_f32_e32 v61, v24, v48
	v_add_f32_e32 v5, v29, v24
	v_fmac_f32_e32 v29, -0.5, v61
	v_fmamk_f32 v61, v59, 0xbf737871, v29
	v_fmac_f32_e32 v29, 0x3f737871, v59
	v_fmac_f32_e32 v61, 0x3f167918, v23
	;; [unrolled: 1-line block ×3, first 2 shown]
	v_add_f32_e32 v23, v13, v33
	v_add_f32_e32 v23, v23, v46
	v_mul_f32_e32 v68, v107, v87
	v_add_f32_e32 v23, v23, v42
	v_fma_f32 v68, v39, v86, -v68
	v_mul_f32_e32 v39, v39, v87
	v_add_f32_e32 v5, v5, v44
	v_add_f32_e32 v59, v23, v47
	;; [unrolled: 1-line block ×3, first 2 shown]
	v_fmac_f32_e32 v39, v107, v86
	v_add_f32_e32 v5, v5, v17
	v_fma_f32 v86, -0.5, v23, v13
	v_sub_f32_e32 v23, v24, v48
	v_add_f32_e32 v5, v5, v48
	v_sub_f32_e32 v76, v44, v24
	v_sub_f32_e32 v78, v17, v48
	v_fmamk_f32 v24, v23, 0xbf737871, v86
	v_sub_f32_e32 v17, v44, v17
	v_sub_f32_e32 v44, v33, v46
	v_sub_f32_e32 v48, v47, v42
	v_fmac_f32_e32 v86, 0x3f737871, v23
	v_fmac_f32_e32 v24, 0xbf167918, v17
	v_add_f32_e32 v44, v44, v48
	v_fmac_f32_e32 v86, 0x3f167918, v17
	v_fmac_f32_e32 v24, 0x3e9e377a, v44
	;; [unrolled: 1-line block ×3, first 2 shown]
	v_add_f32_e32 v44, v33, v47
	v_mul_f32_e32 v49, v101, v73
	v_fmac_f32_e32 v13, -0.5, v44
	v_fma_f32 v49, v45, v72, -v49
	v_mul_f32_e32 v45, v45, v73
	v_fmamk_f32 v44, v17, 0x3f737871, v13
	v_sub_f32_e32 v33, v46, v33
	v_sub_f32_e32 v42, v42, v47
	v_fmac_f32_e32 v13, 0xbf737871, v17
	v_fmac_f32_e32 v45, v101, v72
	;; [unrolled: 1-line block ×3, first 2 shown]
	v_add_f32_e32 v33, v33, v42
	v_fmac_f32_e32 v13, 0x3f167918, v23
	v_add_f32_e32 v23, v58, v60
	v_fmac_f32_e32 v44, 0x3e9e377a, v33
	v_fmac_f32_e32 v13, 0x3e9e377a, v33
	v_fma_f32 v23, -0.5, v23, v30
	v_sub_f32_e32 v33, v45, v38
	v_fmamk_f32 v42, v33, 0x3f737871, v23
	v_sub_f32_e32 v46, v40, v43
	v_sub_f32_e32 v47, v49, v58
	;; [unrolled: 1-line block ×3, first 2 shown]
	v_fmac_f32_e32 v23, 0xbf737871, v33
	v_fmac_f32_e32 v42, 0x3f167918, v46
	v_add_f32_e32 v47, v47, v48
	v_fmac_f32_e32 v23, 0xbf167918, v46
	v_fmac_f32_e32 v42, 0x3e9e377a, v47
	;; [unrolled: 1-line block ×3, first 2 shown]
	v_add_f32_e32 v47, v49, v64
	v_add_f32_e32 v76, v76, v78
	;; [unrolled: 1-line block ×3, first 2 shown]
	v_fma_f32 v30, -0.5, v47, v30
	v_fmac_f32_e32 v61, 0x3e9e377a, v76
	v_fmac_f32_e32 v29, 0x3e9e377a, v76
	v_fmamk_f32 v47, v46, 0xbf737871, v30
	v_sub_f32_e32 v48, v58, v49
	v_sub_f32_e32 v76, v60, v64
	v_fmac_f32_e32 v30, 0x3f737871, v46
	v_add_f32_e32 v17, v17, v58
	v_fmac_f32_e32 v47, 0x3f167918, v33
	v_add_f32_e32 v48, v48, v76
	;; [unrolled: 2-line block ×3, first 2 shown]
	v_add_f32_e32 v17, v17, v60
	v_fmac_f32_e32 v47, 0x3e9e377a, v48
	v_fmac_f32_e32 v30, 0x3e9e377a, v48
	v_add_f32_e32 v33, v14, v45
	v_fma_f32 v46, -0.5, v46, v14
	v_sub_f32_e32 v48, v49, v64
	v_add_f32_e32 v17, v17, v64
	v_add_f32_e32 v33, v33, v40
	v_fmamk_f32 v49, v48, 0xbf737871, v46
	v_sub_f32_e32 v58, v58, v60
	v_sub_f32_e32 v60, v45, v40
	;; [unrolled: 1-line block ×3, first 2 shown]
	v_fmac_f32_e32 v46, 0x3f737871, v48
	v_mul_f32_e32 v66, v105, v83
	v_add_f32_e32 v33, v33, v43
	v_fmac_f32_e32 v49, 0xbf167918, v58
	v_add_f32_e32 v60, v60, v64
	v_fmac_f32_e32 v46, 0x3f167918, v58
	v_fma_f32 v66, v41, v82, -v66
	v_add_f32_e32 v33, v33, v38
	v_fmac_f32_e32 v49, 0x3e9e377a, v60
	v_fmac_f32_e32 v46, 0x3e9e377a, v60
	v_add_f32_e32 v60, v45, v38
	v_sub_f32_e32 v40, v40, v45
	v_sub_f32_e32 v38, v43, v38
	v_mul_f32_e32 v41, v41, v83
	v_fma_f32 v14, -0.5, v60, v14
	v_add_f32_e32 v38, v40, v38
	v_add_f32_e32 v40, v66, v67
	v_fmac_f32_e32 v41, v105, v82
	v_fmamk_f32 v60, v58, 0x3f737871, v14
	v_fmac_f32_e32 v14, 0xbf737871, v58
	v_fma_f32 v40, -0.5, v40, v31
	v_sub_f32_e32 v43, v36, v39
	v_fmac_f32_e32 v60, 0xbf167918, v48
	v_fmac_f32_e32 v14, 0x3f167918, v48
	v_fmamk_f32 v45, v43, 0x3f737871, v40
	v_sub_f32_e32 v48, v41, v34
	v_sub_f32_e32 v58, v65, v66
	;; [unrolled: 1-line block ×3, first 2 shown]
	v_fmac_f32_e32 v40, 0xbf737871, v43
	v_fmac_f32_e32 v45, 0x3f167918, v48
	v_add_f32_e32 v58, v58, v64
	v_fmac_f32_e32 v40, 0xbf167918, v48
	v_fmac_f32_e32 v45, 0x3e9e377a, v58
	;; [unrolled: 1-line block ×3, first 2 shown]
	v_add_f32_e32 v58, v65, v68
	v_fmac_f32_e32 v60, 0x3e9e377a, v38
	v_fmac_f32_e32 v14, 0x3e9e377a, v38
	v_add_f32_e32 v38, v31, v65
	v_fmac_f32_e32 v31, -0.5, v58
	v_fmamk_f32 v58, v48, 0xbf737871, v31
	v_sub_f32_e32 v64, v66, v65
	v_sub_f32_e32 v76, v67, v68
	v_fmac_f32_e32 v31, 0x3f737871, v48
	v_add_f32_e32 v38, v38, v66
	v_fmac_f32_e32 v58, 0x3f167918, v43
	v_add_f32_e32 v64, v64, v76
	;; [unrolled: 2-line block ×3, first 2 shown]
	v_add_f32_e32 v38, v38, v67
	v_fmac_f32_e32 v58, 0x3e9e377a, v64
	v_fmac_f32_e32 v31, 0x3e9e377a, v64
	v_fma_f32 v48, -0.5, v48, v15
	v_sub_f32_e32 v64, v65, v68
	v_add_f32_e32 v38, v38, v68
	v_add_f32_e32 v43, v15, v36
	v_fmamk_f32 v65, v64, 0xbf737871, v48
	v_sub_f32_e32 v66, v66, v67
	v_sub_f32_e32 v67, v36, v41
	;; [unrolled: 1-line block ×3, first 2 shown]
	v_fmac_f32_e32 v48, 0x3f737871, v64
	s_waitcnt vmcnt(0)
	v_mul_f32_e32 v70, v109, v93
	v_mul_f32_e32 v71, v96, v95
	;; [unrolled: 1-line block ×4, first 2 shown]
	v_add_f32_e32 v43, v43, v41
	v_fmac_f32_e32 v65, 0xbf167918, v66
	v_add_f32_e32 v67, v67, v68
	v_fmac_f32_e32 v48, 0x3f167918, v66
	v_fma_f32 v70, v37, v92, -v70
	v_mul_f32_e32 v37, v37, v93
	v_fma_f32 v71, v32, v94, -v71
	v_fma_f32 v72, v35, v88, -v72
	;; [unrolled: 1-line block ×3, first 2 shown]
	v_mul_f32_e32 v18, v18, v91
	v_add_f32_e32 v43, v43, v34
	v_fmac_f32_e32 v65, 0x3e9e377a, v67
	v_fmac_f32_e32 v48, 0x3e9e377a, v67
	v_add_f32_e32 v67, v36, v39
	v_sub_f32_e32 v36, v41, v36
	v_sub_f32_e32 v34, v34, v39
	v_fmac_f32_e32 v37, v109, v92
	v_mul_f32_e32 v32, v32, v95
	v_mul_f32_e32 v35, v35, v89
	v_fmac_f32_e32 v18, v113, v90
	v_fmac_f32_e32 v15, -0.5, v67
	v_add_f32_e32 v34, v36, v34
	v_add_f32_e32 v36, v71, v72
	v_fmac_f32_e32 v32, v96, v94
	v_fmac_f32_e32 v35, v111, v88
	v_add_f32_e32 v43, v43, v39
	v_fmamk_f32 v67, v66, 0x3f737871, v15
	v_fmac_f32_e32 v15, 0xbf737871, v66
	v_fma_f32 v36, -0.5, v36, v26
	v_sub_f32_e32 v39, v37, v18
	v_fmac_f32_e32 v67, 0xbf167918, v64
	v_fmac_f32_e32 v15, 0x3f167918, v64
	v_fmamk_f32 v41, v39, 0x3f737871, v36
	v_sub_f32_e32 v64, v32, v35
	v_sub_f32_e32 v66, v70, v71
	;; [unrolled: 1-line block ×3, first 2 shown]
	v_fmac_f32_e32 v36, 0xbf737871, v39
	v_fmac_f32_e32 v41, 0x3f167918, v64
	v_add_f32_e32 v66, v66, v68
	v_fmac_f32_e32 v36, 0xbf167918, v64
	v_fmac_f32_e32 v41, 0x3e9e377a, v66
	;; [unrolled: 1-line block ×3, first 2 shown]
	v_add_f32_e32 v66, v70, v73
	v_fmac_f32_e32 v67, 0x3e9e377a, v34
	v_fmac_f32_e32 v15, 0x3e9e377a, v34
	v_add_f32_e32 v34, v26, v70
	v_fmac_f32_e32 v26, -0.5, v66
	v_fmamk_f32 v66, v64, 0xbf737871, v26
	v_sub_f32_e32 v68, v71, v70
	v_sub_f32_e32 v76, v72, v73
	v_fmac_f32_e32 v26, 0x3f737871, v64
	v_fmac_f32_e32 v66, 0x3f167918, v39
	v_add_f32_e32 v68, v68, v76
	v_fmac_f32_e32 v26, 0xbf167918, v39
	v_add_f32_e32 v64, v32, v35
	v_add_f32_e32 v34, v34, v71
	v_fmac_f32_e32 v66, 0x3e9e377a, v68
	v_fmac_f32_e32 v26, 0x3e9e377a, v68
	v_fma_f32 v64, -0.5, v64, v4
	v_sub_f32_e32 v68, v70, v73
	v_add_f32_e32 v34, v34, v72
	v_fmamk_f32 v87, v68, 0xbf737871, v64
	v_sub_f32_e32 v70, v71, v72
	v_sub_f32_e32 v71, v37, v32
	;; [unrolled: 1-line block ×3, first 2 shown]
	v_fmac_f32_e32 v64, 0x3f737871, v68
	v_add_f32_e32 v39, v4, v37
	v_fmac_f32_e32 v87, 0xbf167918, v70
	v_add_f32_e32 v71, v71, v72
	;; [unrolled: 2-line block ×3, first 2 shown]
	v_fmac_f32_e32 v87, 0x3e9e377a, v71
	v_fmac_f32_e32 v64, 0x3e9e377a, v71
	v_add_f32_e32 v71, v37, v18
	v_add_f32_e32 v39, v39, v35
	v_fmac_f32_e32 v4, -0.5, v71
	v_add_f32_e32 v39, v39, v18
	v_fmamk_f32 v88, v70, 0x3f737871, v4
	v_sub_f32_e32 v32, v32, v37
	v_sub_f32_e32 v18, v35, v18
	v_fmac_f32_e32 v4, 0xbf737871, v70
	v_fmac_f32_e32 v88, 0xbf167918, v68
	v_add_f32_e32 v18, v32, v18
	v_fmac_f32_e32 v4, 0x3f167918, v68
	v_fmac_f32_e32 v88, 0x3e9e377a, v18
	;; [unrolled: 1-line block ×3, first 2 shown]
	v_add3_u32 v18, 0, v6, v11
	v_mul_u32_u24_e32 v6, 0xdc, v7
	v_add_f32_e32 v80, v80, v81
	v_add3_u32 v19, 0, v6, v19
	v_fmac_f32_e32 v79, 0x3e9e377a, v80
	v_fmac_f32_e32 v28, 0x3e9e377a, v80
	ds_write2_b32 v18, v74, v77 offset1:11
	ds_write2_b32 v18, v79, v28 offset0:22 offset1:33
	ds_write_b32 v18, v75 offset:176
	ds_write2_b32 v19, v5, v25 offset1:11
	ds_write2_b32 v19, v61, v29 offset0:22 offset1:33
	ds_write_b32 v19, v22 offset:176
	v_mul_u32_u24_e32 v5, 0xdc, v8
	v_add3_u32 v5, 0, v5, v21
	v_mul_u32_u24_e32 v6, 0xdc, v9
	v_lshlrev_b32_e32 v69, 2, v112
	ds_write2_b32 v5, v17, v42 offset1:11
	ds_write2_b32 v5, v47, v30 offset0:22 offset1:33
	ds_write_b32 v5, v23 offset:176
	v_add3_u32 v17, 0, v6, v57
	v_mul_u32_u24_e32 v6, 0xdc, v10
	v_add_f32_e32 v34, v34, v73
	v_add3_u32 v21, 0, v6, v69
	ds_write2_b32 v17, v38, v45 offset1:11
	ds_write2_b32 v17, v58, v31 offset0:22 offset1:33
	ds_write_b32 v17, v40 offset:176
	ds_write2_b32 v21, v34, v41 offset1:11
	ds_write2_b32 v21, v66, v26 offset0:22 offset1:33
	ds_write_b32 v21, v36 offset:176
	s_waitcnt lgkmcnt(0)
	; wave barrier
	s_waitcnt lgkmcnt(0)
	ds_read2_b32 v[10:11], v1 offset1:55
	ds_read2_b32 v[6:7], v50 offset0:92 offset1:147
	ds_read2_b32 v[22:23], v20 offset0:38 offset1:93
	;; [unrolled: 1-line block ×11, first 2 shown]
	ds_read_b32 v57, v1 offset:5280
	s_waitcnt lgkmcnt(0)
	; wave barrier
	s_waitcnt lgkmcnt(0)
	ds_write2_b32 v18, v84, v27 offset1:11
	ds_write2_b32 v18, v16, v12 offset0:22 offset1:33
	ds_write_b32 v18, v85 offset:176
	ds_write2_b32 v19, v59, v24 offset1:11
	ds_write2_b32 v19, v44, v13 offset0:22 offset1:33
	ds_write_b32 v19, v86 offset:176
	;; [unrolled: 3-line block ×5, first 2 shown]
	v_lshlrev_b32_e32 v4, 2, v0
	v_mov_b32_e32 v5, 0
	v_lshl_add_u64 v[18:19], v[4:5], 3, s[4:5]
	v_mul_lo_u16_sdwa v4, v52, s2 dst_sel:DWORD dst_unused:UNUSED_PAD src0_sel:BYTE_0 src1_sel:DWORD
	s_waitcnt lgkmcnt(0)
	; wave barrier
	s_waitcnt lgkmcnt(0)
	global_load_dwordx4 v[14:17], v[18:19], off offset:352
	global_load_dwordx4 v[30:33], v[18:19], off offset:368
	v_lshrrev_b16_e32 v4, 13, v4
	v_mul_lo_u16_e32 v4, 55, v4
	v_sub_u16_e32 v4, v52, v4
	v_and_b32_e32 v4, 0xff, v4
	v_lshlrev_b32_e32 v12, 5, v4
	global_load_dwordx4 v[34:37], v12, s[4:5] offset:352
	global_load_dwordx4 v[38:41], v12, s[4:5] offset:368
	v_mul_lo_u16_sdwa v12, v56, s2 dst_sel:DWORD dst_unused:UNUSED_PAD src0_sel:BYTE_0 src1_sel:DWORD
	v_lshrrev_b16_e32 v12, 13, v12
	v_mul_lo_u16_e32 v12, 55, v12
	v_sub_u16_e32 v12, v56, v12
	v_and_b32_e32 v12, 0xff, v12
	v_lshlrev_b32_e32 v13, 5, v12
	global_load_dwordx4 v[42:45], v13, s[4:5] offset:352
	global_load_dwordx4 v[46:49], v13, s[4:5] offset:368
	v_mul_u32_u24_sdwa v13, v62, s3 dst_sel:DWORD dst_unused:UNUSED_PAD src0_sel:WORD_0 src1_sel:DWORD
	v_sub_u16_sdwa v21, v62, v13 dst_sel:DWORD dst_unused:UNUSED_PAD src0_sel:DWORD src1_sel:WORD_1
	v_lshrrev_b16_e32 v21, 1, v21
	v_add_u16_sdwa v13, v21, v13 dst_sel:DWORD dst_unused:UNUSED_PAD src0_sel:DWORD src1_sel:WORD_1
	v_lshrrev_b16_e32 v13, 5, v13
	v_mul_lo_u16_e32 v13, 55, v13
	v_sub_u16_e32 v13, v62, v13
	v_lshlrev_b32_e32 v21, 5, v13
	global_load_dwordx4 v[58:61], v21, s[4:5] offset:368
	global_load_dwordx4 v[64:67], v21, s[4:5] offset:352
	ds_read2_b32 v[26:27], v1 offset1:55
	ds_read2_b32 v[24:25], v50 offset0:92 offset1:147
	ds_read2_b32 v[84:85], v20 offset0:38 offset1:93
	;; [unrolled: 1-line block ×11, first 2 shown]
	ds_read_b32 v21, v1 offset:5280
	v_lshl_add_u32 v4, v4, 2, 0
	s_waitcnt lgkmcnt(0)
	; wave barrier
	s_waitcnt lgkmcnt(0)
	s_mov_b32 s2, 0x3f737871
	s_waitcnt vmcnt(7)
	v_mul_f32_e32 v102, v25, v15
	v_fma_f32 v102, v7, v14, -v102
	v_mul_f32_e32 v7, v7, v15
	v_fmac_f32_e32 v7, v25, v14
	v_mul_f32_e32 v25, v84, v17
	v_fma_f32 v25, v22, v16, -v25
	v_mul_f32_e32 v22, v22, v17
	v_fmac_f32_e32 v22, v84, v16
	s_waitcnt vmcnt(6)
	v_mul_f32_e32 v84, v87, v31
	v_fma_f32 v84, v69, v30, -v84
	v_mul_f32_e32 v69, v69, v31
	v_fmac_f32_e32 v69, v87, v30
	v_mul_f32_e32 v87, v88, v33
	v_fma_f32 v87, v70, v32, -v87
	v_mul_f32_e32 v70, v70, v33
	v_fmac_f32_e32 v70, v88, v32
	v_mul_f32_e32 v88, v90, v15
	v_mul_f32_e32 v15, v72, v15
	v_fma_f32 v88, v72, v14, -v88
	v_fmac_f32_e32 v15, v90, v14
	v_mul_f32_e32 v14, v85, v17
	v_mul_f32_e32 v17, v23, v17
	v_fma_f32 v14, v23, v16, -v14
	;; [unrolled: 4-line block ×4, first 2 shown]
	v_fmac_f32_e32 v31, v89, v32
	s_waitcnt vmcnt(5)
	v_mul_f32_e32 v32, v91, v35
	v_mul_f32_e32 v33, v73, v35
	v_fma_f32 v32, v73, v34, -v32
	v_fmac_f32_e32 v33, v91, v34
	v_mul_f32_e32 v34, v94, v37
	v_mul_f32_e32 v35, v76, v37
	v_fma_f32 v34, v76, v36, -v34
	v_fmac_f32_e32 v35, v94, v36
	s_waitcnt vmcnt(4)
	v_mul_f32_e32 v36, v93, v39
	v_mul_f32_e32 v37, v75, v39
	v_fma_f32 v36, v75, v38, -v36
	v_fmac_f32_e32 v37, v93, v38
	v_mul_f32_e32 v38, v96, v41
	v_mul_f32_e32 v39, v78, v41
	v_fma_f32 v38, v78, v40, -v38
	;; [unrolled: 9-line block ×5, first 2 shown]
	v_fmac_f32_e32 v65, v86, v66
	v_mul_f32_e32 v66, v101, v59
	v_mul_f32_e32 v59, v83, v59
	v_fma_f32 v66, v83, v58, -v66
	v_fmac_f32_e32 v59, v101, v58
	v_mul_f32_e32 v58, v21, v61
	v_fma_f32 v58, v57, v60, -v58
	v_mul_f32_e32 v57, v57, v61
	v_fmac_f32_e32 v57, v21, v60
	v_add_f32_e32 v60, v25, v84
	v_fma_f32 v60, -0.5, v60, v10
	v_sub_f32_e32 v61, v7, v70
	v_fmamk_f32 v67, v61, 0x3f737871, v60
	v_sub_f32_e32 v68, v22, v69
	v_sub_f32_e32 v71, v102, v25
	;; [unrolled: 1-line block ×3, first 2 shown]
	v_fmac_f32_e32 v60, 0xbf737871, v61
	v_fmac_f32_e32 v67, 0x3f167918, v68
	v_add_f32_e32 v71, v71, v72
	v_fmac_f32_e32 v60, 0xbf167918, v68
	v_fmac_f32_e32 v67, 0x3e9e377a, v71
	;; [unrolled: 1-line block ×3, first 2 shown]
	v_add_f32_e32 v71, v102, v87
	v_add_f32_e32 v21, v10, v102
	v_fma_f32 v10, -0.5, v71, v10
	v_fmamk_f32 v71, v68, 0xbf737871, v10
	v_sub_f32_e32 v72, v25, v102
	v_sub_f32_e32 v73, v84, v87
	v_fmac_f32_e32 v10, 0x3f737871, v68
	v_fmac_f32_e32 v71, 0x3f167918, v61
	v_add_f32_e32 v72, v72, v73
	v_fmac_f32_e32 v10, 0xbf167918, v61
	v_add_f32_e32 v68, v22, v69
	v_fmac_f32_e32 v71, 0x3e9e377a, v72
	v_fmac_f32_e32 v10, 0x3e9e377a, v72
	v_fma_f32 v68, -0.5, v68, v26
	v_sub_f32_e32 v72, v102, v87
	v_add_f32_e32 v21, v21, v25
	v_fmamk_f32 v73, v72, 0xbf737871, v68
	v_sub_f32_e32 v25, v25, v84
	v_sub_f32_e32 v74, v7, v22
	v_sub_f32_e32 v75, v70, v69
	v_fmac_f32_e32 v68, 0x3f737871, v72
	v_add_f32_e32 v61, v26, v7
	v_fmac_f32_e32 v73, 0xbf167918, v25
	v_add_f32_e32 v74, v74, v75
	;; [unrolled: 2-line block ×3, first 2 shown]
	v_fmac_f32_e32 v73, 0x3e9e377a, v74
	v_fmac_f32_e32 v68, 0x3e9e377a, v74
	v_add_f32_e32 v74, v7, v70
	v_sub_f32_e32 v7, v22, v7
	v_sub_f32_e32 v22, v69, v70
	v_fma_f32 v26, -0.5, v74, v26
	v_add_f32_e32 v7, v7, v22
	v_add_f32_e32 v22, v14, v16
	v_add_f32_e32 v61, v61, v69
	v_fmamk_f32 v74, v25, 0x3f737871, v26
	v_fmac_f32_e32 v26, 0xbf737871, v25
	v_fma_f32 v22, -0.5, v22, v11
	v_sub_f32_e32 v25, v15, v31
	v_add_f32_e32 v61, v61, v70
	v_fmac_f32_e32 v74, 0xbf167918, v72
	v_fmac_f32_e32 v26, 0x3f167918, v72
	v_fmamk_f32 v69, v25, 0x3f737871, v22
	v_sub_f32_e32 v70, v17, v23
	v_sub_f32_e32 v72, v88, v14
	;; [unrolled: 1-line block ×3, first 2 shown]
	v_fmac_f32_e32 v22, 0xbf737871, v25
	v_fmac_f32_e32 v69, 0x3f167918, v70
	v_add_f32_e32 v72, v72, v75
	v_fmac_f32_e32 v22, 0xbf167918, v70
	v_fmac_f32_e32 v74, 0x3e9e377a, v7
	;; [unrolled: 1-line block ×3, first 2 shown]
	v_add_f32_e32 v7, v11, v88
	v_fmac_f32_e32 v69, 0x3e9e377a, v72
	v_fmac_f32_e32 v22, 0x3e9e377a, v72
	v_add_f32_e32 v72, v88, v30
	v_add_f32_e32 v7, v7, v14
	v_fmac_f32_e32 v11, -0.5, v72
	v_add_f32_e32 v7, v7, v16
	v_fmamk_f32 v72, v70, 0xbf737871, v11
	v_sub_f32_e32 v75, v14, v88
	v_sub_f32_e32 v76, v16, v30
	v_fmac_f32_e32 v11, 0x3f737871, v70
	v_add_f32_e32 v70, v17, v23
	v_add_f32_e32 v7, v7, v30
	v_fmac_f32_e32 v72, 0x3f167918, v25
	v_add_f32_e32 v75, v75, v76
	v_fmac_f32_e32 v11, 0xbf167918, v25
	v_fma_f32 v70, -0.5, v70, v27
	v_sub_f32_e32 v30, v88, v30
	v_fmac_f32_e32 v72, 0x3e9e377a, v75
	v_fmac_f32_e32 v11, 0x3e9e377a, v75
	v_fmamk_f32 v75, v30, 0xbf737871, v70
	v_sub_f32_e32 v14, v14, v16
	v_sub_f32_e32 v16, v15, v17
	;; [unrolled: 1-line block ×3, first 2 shown]
	v_fmac_f32_e32 v70, 0x3f737871, v30
	v_fmac_f32_e32 v75, 0xbf167918, v14
	v_add_f32_e32 v16, v16, v76
	v_fmac_f32_e32 v70, 0x3f167918, v14
	v_fmac_f32_e32 v75, 0x3e9e377a, v16
	;; [unrolled: 1-line block ×3, first 2 shown]
	v_add_f32_e32 v16, v15, v31
	v_add_f32_e32 v25, v27, v15
	v_fmac_f32_e32 v27, -0.5, v16
	v_fmamk_f32 v76, v14, 0x3f737871, v27
	v_sub_f32_e32 v15, v17, v15
	v_sub_f32_e32 v16, v23, v31
	v_fmac_f32_e32 v27, 0xbf737871, v14
	v_fmac_f32_e32 v76, 0xbf167918, v30
	v_add_f32_e32 v15, v15, v16
	v_fmac_f32_e32 v27, 0x3f167918, v30
	v_add_f32_e32 v25, v25, v17
	v_fmac_f32_e32 v76, 0x3e9e377a, v15
	v_fmac_f32_e32 v27, 0x3e9e377a, v15
	v_add_f32_e32 v15, v34, v36
	v_add_f32_e32 v25, v25, v23
	v_fma_f32 v15, -0.5, v15, v8
	v_sub_f32_e32 v16, v33, v39
	v_add_f32_e32 v25, v25, v31
	v_fmamk_f32 v17, v16, 0x3f737871, v15
	v_sub_f32_e32 v23, v35, v37
	v_sub_f32_e32 v30, v32, v34
	;; [unrolled: 1-line block ×3, first 2 shown]
	v_fmac_f32_e32 v15, 0xbf737871, v16
	v_fmac_f32_e32 v17, 0x3f167918, v23
	v_add_f32_e32 v30, v30, v31
	v_fmac_f32_e32 v15, 0xbf167918, v23
	v_fmac_f32_e32 v17, 0x3e9e377a, v30
	v_fmac_f32_e32 v15, 0x3e9e377a, v30
	v_add_f32_e32 v30, v32, v38
	v_add_f32_e32 v14, v8, v32
	v_fma_f32 v8, -0.5, v30, v8
	v_fmamk_f32 v30, v23, 0xbf737871, v8
	v_fmac_f32_e32 v8, 0x3f737871, v23
	v_fmac_f32_e32 v30, 0x3f167918, v16
	;; [unrolled: 1-line block ×3, first 2 shown]
	v_add_f32_e32 v16, v28, v33
	v_sub_f32_e32 v31, v34, v32
	v_sub_f32_e32 v77, v36, v38
	v_add_f32_e32 v16, v16, v35
	v_add_f32_e32 v31, v31, v77
	;; [unrolled: 1-line block ×3, first 2 shown]
	v_fmac_f32_e32 v30, 0x3e9e377a, v31
	v_fmac_f32_e32 v8, 0x3e9e377a, v31
	v_add_f32_e32 v31, v16, v39
	v_add_f32_e32 v16, v35, v37
	;; [unrolled: 1-line block ×3, first 2 shown]
	v_fma_f32 v77, -0.5, v16, v28
	v_sub_f32_e32 v16, v32, v38
	v_add_f32_e32 v14, v14, v36
	v_fmamk_f32 v32, v16, 0xbf737871, v77
	v_sub_f32_e32 v23, v34, v36
	v_sub_f32_e32 v34, v33, v35
	;; [unrolled: 1-line block ×3, first 2 shown]
	v_fmac_f32_e32 v77, 0x3f737871, v16
	v_fmac_f32_e32 v32, 0xbf167918, v23
	v_add_f32_e32 v34, v34, v36
	v_fmac_f32_e32 v77, 0x3f167918, v23
	v_fmac_f32_e32 v32, 0x3e9e377a, v34
	;; [unrolled: 1-line block ×3, first 2 shown]
	v_add_f32_e32 v34, v33, v39
	v_fma_f32 v28, -0.5, v34, v28
	v_fmamk_f32 v36, v23, 0x3f737871, v28
	v_sub_f32_e32 v33, v35, v33
	v_sub_f32_e32 v34, v37, v39
	v_fmac_f32_e32 v28, 0xbf737871, v23
	v_fmac_f32_e32 v36, 0xbf167918, v16
	v_add_f32_e32 v33, v33, v34
	v_fmac_f32_e32 v28, 0x3f167918, v16
	v_add_f32_e32 v23, v42, v44
	v_fmac_f32_e32 v36, 0x3e9e377a, v33
	v_fmac_f32_e32 v28, 0x3e9e377a, v33
	v_fma_f32 v23, -0.5, v23, v9
	v_sub_f32_e32 v33, v41, v47
	v_add_f32_e32 v14, v14, v38
	v_fmamk_f32 v34, v33, 0x3f737871, v23
	v_sub_f32_e32 v35, v43, v45
	v_sub_f32_e32 v37, v40, v42
	;; [unrolled: 1-line block ×3, first 2 shown]
	v_fmac_f32_e32 v23, 0xbf737871, v33
	v_fmac_f32_e32 v34, 0x3f167918, v35
	v_add_f32_e32 v37, v37, v38
	v_fmac_f32_e32 v23, 0xbf167918, v35
	v_fmac_f32_e32 v34, 0x3e9e377a, v37
	v_fmac_f32_e32 v23, 0x3e9e377a, v37
	v_add_f32_e32 v37, v40, v46
	v_add_f32_e32 v16, v9, v40
	v_fmac_f32_e32 v9, -0.5, v37
	v_fmamk_f32 v37, v35, 0xbf737871, v9
	v_sub_f32_e32 v38, v42, v40
	v_sub_f32_e32 v39, v44, v46
	v_fmac_f32_e32 v9, 0x3f737871, v35
	v_add_f32_e32 v35, v43, v45
	v_fmac_f32_e32 v37, 0x3f167918, v33
	v_add_f32_e32 v38, v38, v39
	v_fmac_f32_e32 v9, 0xbf167918, v33
	v_fma_f32 v78, -0.5, v35, v29
	v_sub_f32_e32 v35, v40, v46
	v_add_f32_e32 v16, v16, v42
	v_fmac_f32_e32 v37, 0x3e9e377a, v38
	v_fmac_f32_e32 v9, 0x3e9e377a, v38
	v_fmamk_f32 v40, v35, 0xbf737871, v78
	v_sub_f32_e32 v38, v42, v44
	v_sub_f32_e32 v39, v41, v43
	;; [unrolled: 1-line block ×3, first 2 shown]
	v_fmac_f32_e32 v78, 0x3f737871, v35
	v_fmac_f32_e32 v40, 0xbf167918, v38
	v_add_f32_e32 v39, v39, v42
	v_fmac_f32_e32 v78, 0x3f167918, v38
	v_fmac_f32_e32 v40, 0x3e9e377a, v39
	;; [unrolled: 1-line block ×3, first 2 shown]
	v_add_f32_e32 v39, v41, v47
	v_add_f32_e32 v33, v29, v41
	v_fmac_f32_e32 v29, -0.5, v39
	v_fmamk_f32 v42, v38, 0x3f737871, v29
	v_sub_f32_e32 v39, v43, v41
	v_sub_f32_e32 v41, v45, v47
	v_fmac_f32_e32 v29, 0xbf737871, v38
	v_fmac_f32_e32 v42, 0xbf167918, v35
	v_add_f32_e32 v39, v39, v41
	v_fmac_f32_e32 v29, 0x3f167918, v35
	v_add_f32_e32 v38, v64, v66
	v_add_f32_e32 v33, v33, v43
	v_fmac_f32_e32 v42, 0x3e9e377a, v39
	v_fmac_f32_e32 v29, 0x3e9e377a, v39
	v_fma_f32 v38, -0.5, v38, v6
	v_sub_f32_e32 v39, v49, v57
	v_add_f32_e32 v16, v16, v44
	v_add_f32_e32 v33, v33, v45
	v_fmamk_f32 v41, v39, 0x3f737871, v38
	v_sub_f32_e32 v43, v65, v59
	v_sub_f32_e32 v44, v48, v64
	;; [unrolled: 1-line block ×3, first 2 shown]
	v_fmac_f32_e32 v38, 0xbf737871, v39
	v_fmac_f32_e32 v41, 0x3f167918, v43
	v_add_f32_e32 v44, v44, v45
	v_fmac_f32_e32 v38, 0xbf167918, v43
	v_fmac_f32_e32 v41, 0x3e9e377a, v44
	;; [unrolled: 1-line block ×3, first 2 shown]
	v_add_f32_e32 v44, v48, v58
	v_add_f32_e32 v35, v6, v48
	v_fmac_f32_e32 v6, -0.5, v44
	v_fmamk_f32 v44, v43, 0xbf737871, v6
	v_fmac_f32_e32 v6, 0x3f737871, v43
	v_fmac_f32_e32 v44, 0x3f167918, v39
	;; [unrolled: 1-line block ×3, first 2 shown]
	v_add_f32_e32 v39, v24, v49
	v_add_f32_e32 v39, v39, v65
	;; [unrolled: 1-line block ×5, first 2 shown]
	v_sub_f32_e32 v45, v64, v48
	v_sub_f32_e32 v46, v66, v58
	v_add_f32_e32 v43, v39, v57
	v_add_f32_e32 v39, v65, v59
	;; [unrolled: 1-line block ×5, first 2 shown]
	v_fma_f32 v79, -0.5, v39, v24
	v_sub_f32_e32 v39, v48, v58
	v_add_f32_e32 v21, v21, v87
	v_add_f32_e32 v33, v33, v47
	;; [unrolled: 1-line block ×3, first 2 shown]
	v_fmac_f32_e32 v44, 0x3e9e377a, v45
	v_fmac_f32_e32 v6, 0x3e9e377a, v45
	v_fmamk_f32 v58, v39, 0xbf737871, v79
	v_sub_f32_e32 v45, v64, v66
	v_sub_f32_e32 v46, v49, v65
	;; [unrolled: 1-line block ×3, first 2 shown]
	v_fmac_f32_e32 v79, 0x3f737871, v39
	v_fmac_f32_e32 v58, 0xbf167918, v45
	v_add_f32_e32 v46, v46, v47
	v_fmac_f32_e32 v79, 0x3f167918, v45
	ds_write2_b32 v1, v21, v67 offset1:55
	ds_write2_b32 v1, v71, v10 offset0:110 offset1:165
	ds_write2_b32 v50, v60, v7 offset0:92 offset1:147
	ds_write2_b32 v51, v69, v72 offset0:74 offset1:129
	ds_write2_b32 v51, v11, v22 offset0:184 offset1:239
	v_add_u32_e32 v11, 0x800, v4
	v_fmac_f32_e32 v58, 0x3e9e377a, v46
	v_fmac_f32_e32 v79, 0x3e9e377a, v46
	v_add_f32_e32 v46, v49, v57
	ds_write2_b32 v11, v14, v17 offset0:38 offset1:93
	ds_write2_b32 v11, v30, v8 offset0:148 offset1:203
	ds_write_b32 v4, v15 offset:3080
	v_lshl_add_u32 v30, v12, 2, 0
	v_fmac_f32_e32 v24, -0.5, v46
	v_sub_f32_e32 v47, v59, v57
	v_add_u32_e32 v57, 0xc00, v30
	v_fmamk_f32 v64, v45, 0x3f737871, v24
	v_sub_f32_e32 v46, v65, v49
	v_fmac_f32_e32 v24, 0xbf737871, v45
	ds_write2_b32 v57, v16, v34 offset0:57 offset1:112
	ds_write2_b32 v57, v37, v9 offset0:167 offset1:222
	ds_write_b32 v30, v23 offset:4180
	v_lshl_add_u32 v37, v13, 2, 0
	v_fmac_f32_e32 v64, 0xbf167918, v39
	v_add_f32_e32 v46, v46, v47
	v_fmac_f32_e32 v24, 0x3f167918, v39
	v_add_u32_e32 v59, 0x1000, v37
	v_fmac_f32_e32 v64, 0x3e9e377a, v46
	v_fmac_f32_e32 v24, 0x3e9e377a, v46
	ds_write2_b32 v59, v35, v41 offset0:76 offset1:131
	ds_write2_b32 v59, v44, v6 offset0:186 offset1:241
	ds_write_b32 v37, v38 offset:5280
	s_waitcnt lgkmcnt(0)
	; wave barrier
	s_waitcnt lgkmcnt(0)
	ds_read2_b32 v[46:47], v1 offset1:55
	ds_read2_b32 v[6:7], v50 offset0:92 offset1:147
	ds_read2_b32 v[48:49], v20 offset0:38 offset1:93
	;; [unrolled: 1-line block ×11, first 2 shown]
	ds_read_b32 v10, v1 offset:5280
	s_waitcnt lgkmcnt(0)
	; wave barrier
	s_waitcnt lgkmcnt(0)
	ds_write2_b32 v1, v61, v73 offset1:55
	ds_write2_b32 v1, v74, v26 offset0:110 offset1:165
	ds_write2_b32 v50, v68, v25 offset0:92 offset1:147
	;; [unrolled: 1-line block ×6, first 2 shown]
	ds_write_b32 v4, v77 offset:3080
	ds_write2_b32 v57, v33, v40 offset0:57 offset1:112
	ds_write2_b32 v57, v42, v29 offset0:167 offset1:222
	ds_write_b32 v30, v78 offset:4180
	ds_write2_b32 v59, v43, v58 offset0:76 offset1:131
	ds_write2_b32 v59, v64, v24 offset0:186 offset1:241
	ds_write_b32 v37, v79 offset:5280
	s_waitcnt lgkmcnt(0)
	; wave barrier
	s_waitcnt lgkmcnt(0)
	s_and_saveexec_b64 s[10:11], s[0:1]
	s_cbranch_execz .LBB0_19
; %bb.18:
	global_load_dwordx4 v[64:67], v[18:19], off offset:2112
	global_load_dwordx4 v[68:71], v[18:19], off offset:2128
	v_lshlrev_b32_e32 v4, 2, v62
	v_lshl_add_u64 v[42:43], v[4:5], 3, s[4:5]
	v_lshlrev_b32_e32 v4, 2, v56
	v_add_u32_e32 v11, 0x400, v1
	v_add_u32_e32 v19, 0xc00, v1
	;; [unrolled: 1-line block ×6, first 2 shown]
	v_lshl_add_u64 v[56:57], v[4:5], 3, s[4:5]
	v_lshlrev_b32_e32 v4, 2, v52
	ds_read_b32 v18, v1 offset:5280
	ds_read2_b32 v[28:29], v1 offset0:110 offset1:165
	ds_read2_b32 v[58:59], v1 offset1:55
	ds_read2_b32 v[30:31], v11 offset0:184 offset1:239
	ds_read2_b32 v[32:33], v19 offset0:2 offset1:57
	ds_read2_b32 v[26:27], v24 offset0:94 offset1:149
	ds_read2_b32 v[24:25], v25 offset0:92 offset1:147
	ds_read2_b32 v[40:41], v81 offset0:148 offset1:203
	ds_read2_b32 v[36:37], v53 offset0:186 offset1:241
	ds_read2_b32 v[54:55], v11 offset0:74 offset1:129
	ds_read2_b32 v[50:51], v19 offset0:112 offset1:167
	ds_read2_b32 v[60:61], v53 offset0:76 offset1:131
	v_lshl_add_u64 v[52:53], v[4:5], 3, s[4:5]
	v_lshlrev_b32_e32 v4, 2, v63
	v_lshl_add_u64 v[90:91], v[4:5], 3, s[4:5]
	global_load_dwordx4 v[72:75], v[90:91], off offset:2128
	global_load_dwordx4 v[76:79], v[90:91], off offset:2112
	ds_read2_b32 v[90:91], v81 offset0:38 offset1:93
	v_mov_b32_e32 v1, v5
	v_lshl_add_u64 v[0:1], v[0:1], 3, v[2:3]
	s_waitcnt lgkmcnt(6)
	v_mov_b32_e32 v2, v25
	v_mov_b32_e32 v4, v33
	;; [unrolled: 1-line block ×8, first 2 shown]
	s_movk_i32 s0, 0x1000
	v_mov_b32_e32 v58, v47
	v_mov_b32_e32 v7, v24
	s_waitcnt vmcnt(3)
	v_mov_b32_e32 v92, v67
	v_mov_b32_e32 v93, v66
	v_pk_mul_f32 v[2:3], v[2:3], v[64:65] op_sel:[0,1] op_sel_hi:[0,0]
	s_waitcnt vmcnt(2)
	v_pk_mul_f32 v[94:95], v[4:5], v[68:69] op_sel:[0,1] op_sel_hi:[0,0]
	v_mov_b32_e32 v96, v71
	v_mov_b32_e32 v97, v70
	s_waitcnt lgkmcnt(0)
	v_pk_mul_f32 v[92:93], v[90:91], v[92:93] op_sel_hi:[0,1]
	v_pk_fma_f32 v[80:81], v[80:81], v[64:65], v[2:3] neg_lo:[0,0,1] neg_hi:[0,0,1]
	v_pk_fma_f32 v[2:3], v[82:83], v[64:65], v[2:3] op_sel_hi:[0,1,1]
	v_pk_fma_f32 v[64:65], v[84:85], v[68:69], v[94:95] neg_lo:[0,0,1] neg_hi:[0,0,1]
	v_pk_fma_f32 v[68:69], v[86:87], v[68:69], v[94:95] op_sel_hi:[0,1,1]
	v_pk_mul_f32 v[82:83], v[60:61], v[96:97] op_sel_hi:[0,1]
	v_pk_fma_f32 v[84:85], v[48:49], v[66:67], v[92:93] neg_lo:[0,0,1] neg_hi:[0,0,1]
	v_pk_fma_f32 v[66:67], v[48:49], v[66:67], v[92:93] op_sel_hi:[0,1,1]
	v_mov_b32_e32 v81, v3
	v_mov_b32_e32 v65, v69
	v_pk_fma_f32 v[2:3], v[44:45], v[70:71], v[82:83] neg_lo:[0,0,1] neg_hi:[0,0,1]
	v_pk_fma_f32 v[68:69], v[44:45], v[70:71], v[82:83] op_sel_hi:[0,1,1]
	v_mov_b32_e32 v85, v67
	v_mov_b32_e32 v3, v69
	v_pk_add_f32 v[66:67], v[88:89], v[80:81]
	v_pk_add_f32 v[68:69], v[84:85], v[64:65]
	v_pk_add_f32 v[66:67], v[66:67], v[84:85]
	v_pk_add_f32 v[70:71], v[80:81], v[2:3] neg_lo:[0,1] neg_hi:[0,1]
	v_pk_add_f32 v[82:83], v[84:85], v[64:65] neg_lo:[0,1] neg_hi:[0,1]
	;; [unrolled: 1-line block ×4, first 2 shown]
	v_pk_add_f32 v[64:65], v[66:67], v[64:65]
	v_pk_fma_f32 v[66:67], v[68:69], 0.5, v[88:89] op_sel_hi:[1,0,1] neg_lo:[1,0,0] neg_hi:[1,0,0]
	v_pk_mul_f32 v[68:69], v[70:71], s[2:3] op_sel_hi:[1,0]
	v_pk_add_f32 v[86:87], v[80:81], v[84:85] neg_lo:[0,1] neg_hi:[0,1]
	v_pk_add_f32 v[84:85], v[84:85], v[80:81] neg_lo:[0,1] neg_hi:[0,1]
	v_pk_add_f32 v[80:81], v[80:81], v[2:3]
	v_pk_mul_f32 v[96:97], v[82:83], s[8:9] op_sel_hi:[1,0]
	v_pk_add_f32 v[2:3], v[2:3], v[64:65]
	v_pk_add_f32 v[64:65], v[66:67], v[68:69] op_sel:[0,1] op_sel_hi:[1,0]
	v_pk_add_f32 v[66:67], v[66:67], v[68:69] op_sel:[0,1] op_sel_hi:[1,0] neg_lo:[0,1] neg_hi:[0,1]
	v_pk_fma_f32 v[80:81], v[80:81], 0.5, v[88:89] op_sel_hi:[1,0,1] neg_lo:[1,0,0] neg_hi:[1,0,0]
	v_pk_add_f32 v[88:89], v[66:67], v[96:97] op_sel:[0,1] op_sel_hi:[1,0] neg_lo:[0,1] neg_hi:[0,1]
	v_pk_add_f32 v[64:65], v[64:65], v[96:97] op_sel:[0,1] op_sel_hi:[1,0]
	v_pk_add_f32 v[86:87], v[86:87], v[92:93]
	global_store_dwordx2 v[0:1], v[2:3], off
	v_mov_b32_e32 v2, v64
	v_mov_b32_e32 v3, v89
	v_pk_mul_f32 v[82:83], v[82:83], s[2:3] op_sel_hi:[1,0]
	v_pk_fma_f32 v[2:3], v[86:87], s[6:7], v[2:3] op_sel_hi:[1,0,1]
	v_pk_mul_f32 v[70:71], v[70:71], s[8:9] op_sel_hi:[1,0]
	global_store_dwordx2 v[0:1], v[2:3], off offset:2200
	v_pk_add_f32 v[2:3], v[80:81], v[82:83] op_sel:[0,1] op_sel_hi:[1,0] neg_lo:[0,1] neg_hi:[0,1]
	v_pk_add_f32 v[66:67], v[80:81], v[82:83] op_sel:[0,1] op_sel_hi:[1,0]
	v_pk_add_f32 v[68:69], v[2:3], v[70:71] op_sel:[0,1] op_sel_hi:[1,0]
	v_pk_add_f32 v[66:67], v[66:67], v[70:71] op_sel:[0,1] op_sel_hi:[1,0] neg_lo:[0,1] neg_hi:[0,1]
	v_pk_add_f32 v[84:85], v[84:85], v[94:95]
	v_mov_b32_e32 v2, v68
	v_mov_b32_e32 v3, v67
	v_pk_fma_f32 v[70:71], v[84:85], s[6:7], v[2:3] op_sel_hi:[1,0,1]
	v_add_co_u32_e32 v2, vcc, s0, v0
	v_mov_b32_e32 v67, v69
	s_nop 0
	v_addc_co_u32_e32 v3, vcc, 0, v1, vcc
	v_pk_fma_f32 v[66:67], v[84:85], s[6:7], v[66:67] op_sel_hi:[1,0,1]
	global_store_dwordx2 v[2:3], v[70:71], off offset:304
	global_store_dwordx2 v[2:3], v[66:67], off offset:2504
	v_mov_b32_e32 v89, v65
	global_load_dwordx4 v[64:67], v[52:53], off offset:2128
	global_load_dwordx4 v[68:71], v[52:53], off offset:2112
	s_movk_i32 s0, 0x2000
	v_add_co_u32_e32 v52, vcc, s0, v0
	v_pk_fma_f32 v[80:81], v[86:87], s[6:7], v[88:89] op_sel_hi:[1,0,1]
	s_nop 0
	v_addc_co_u32_e32 v53, vcc, 0, v1, vcc
	global_store_dwordx2 v[52:53], v[80:81], off offset:608
	s_waitcnt vmcnt(7)
	v_pk_mul_f32 v[80:81], v[54:55], v[76:77] op_sel:[0,1] op_sel_hi:[0,0]
	v_pk_fma_f32 v[82:83], v[38:39], v[76:77], v[80:81] neg_lo:[0,0,1] neg_hi:[0,0,1]
	v_pk_fma_f32 v[76:77], v[38:39], v[76:77], v[80:81] op_sel_hi:[0,1,1]
	v_mov_b32_e32 v4, v49
	v_mov_b32_e32 v38, v49
	;; [unrolled: 1-line block ×5, first 2 shown]
	v_pk_mul_f32 v[48:49], v[44:45], v[48:49] op_sel_hi:[0,1]
	v_mov_b32_e32 v83, v77
	v_pk_fma_f32 v[76:77], v[4:5], v[78:79], v[48:49] neg_lo:[0,0,1] neg_hi:[0,0,1]
	v_pk_fma_f32 v[48:49], v[38:39], v[78:79], v[48:49] op_sel_hi:[0,1,1]
	v_mov_b32_e32 v77, v49
	v_pk_mul_f32 v[48:49], v[50:51], v[72:73] op_sel:[0,1] op_sel_hi:[0,0]
	v_pk_fma_f32 v[78:79], v[34:35], v[72:73], v[48:49] neg_lo:[0,0,1] neg_hi:[0,0,1]
	v_pk_fma_f32 v[48:49], v[34:35], v[72:73], v[48:49] op_sel_hi:[0,1,1]
	v_mov_b32_e32 v4, v45
	v_mov_b32_e32 v34, v45
	;; [unrolled: 1-line block ×5, first 2 shown]
	v_pk_add_f32 v[46:47], v[58:59], v[82:83]
	v_pk_mul_f32 v[44:45], v[38:39], v[44:45] op_sel_hi:[0,1]
	v_pk_add_f32 v[46:47], v[76:77], v[46:47]
	v_mov_b32_e32 v79, v49
	v_pk_fma_f32 v[48:49], v[4:5], v[74:75], v[44:45] neg_lo:[0,0,1] neg_hi:[0,0,1]
	v_pk_fma_f32 v[44:45], v[34:35], v[74:75], v[44:45] op_sel_hi:[0,1,1]
	v_pk_add_f32 v[46:47], v[78:79], v[46:47]
	v_mov_b32_e32 v49, v45
	v_pk_add_f32 v[44:45], v[48:49], v[46:47]
	global_store_dwordx2 v[0:1], v[44:45], off offset:440
	v_pk_add_f32 v[44:45], v[82:83], v[48:49] neg_lo:[0,1] neg_hi:[0,1]
	v_pk_add_f32 v[60:61], v[78:79], v[76:77]
	v_pk_add_f32 v[46:47], v[76:77], v[78:79] neg_lo:[0,1] neg_hi:[0,1]
	v_pk_fma_f32 v[60:61], v[60:61], 0.5, v[58:59] op_sel_hi:[1,0,1] neg_lo:[1,0,0] neg_hi:[1,0,0]
	v_pk_mul_f32 v[72:73], v[44:45], s[2:3] op_sel_hi:[1,0]
	v_pk_add_f32 v[80:81], v[82:83], v[76:77] neg_lo:[0,1] neg_hi:[0,1]
	v_pk_add_f32 v[84:85], v[48:49], v[78:79] neg_lo:[0,1] neg_hi:[0,1]
	v_pk_mul_f32 v[74:75], v[46:47], s[8:9] op_sel_hi:[1,0]
	v_pk_add_f32 v[80:81], v[84:85], v[80:81]
	v_pk_add_f32 v[84:85], v[60:61], v[72:73] op_sel:[0,1] op_sel_hi:[1,0]
	v_pk_add_f32 v[60:61], v[60:61], v[72:73] op_sel:[0,1] op_sel_hi:[1,0] neg_lo:[0,1] neg_hi:[0,1]
	v_pk_mul_f32 v[46:47], v[46:47], s[2:3] op_sel_hi:[1,0]
	v_pk_add_f32 v[72:73], v[60:61], v[74:75] op_sel:[0,1] op_sel_hi:[1,0] neg_lo:[0,1] neg_hi:[0,1]
	v_pk_add_f32 v[74:75], v[84:85], v[74:75] op_sel:[0,1] op_sel_hi:[1,0]
	v_mov_b32_e32 v61, v73
	v_mov_b32_e32 v60, v74
	v_pk_fma_f32 v[60:61], v[80:81], s[6:7], v[60:61] op_sel_hi:[1,0,1]
	global_store_dwordx2 v[0:1], v[60:61], off offset:2640
	v_pk_add_f32 v[60:61], v[76:77], v[82:83] neg_lo:[0,1] neg_hi:[0,1]
	v_pk_add_f32 v[76:77], v[78:79], v[48:49] neg_lo:[0,1] neg_hi:[0,1]
	v_pk_add_f32 v[48:49], v[48:49], v[82:83]
	v_pk_mul_f32 v[44:45], v[44:45], s[8:9] op_sel_hi:[1,0]
	v_pk_fma_f32 v[48:49], v[48:49], 0.5, v[58:59] op_sel_hi:[1,0,1] neg_lo:[1,0,0] neg_hi:[1,0,0]
	v_pk_add_f32 v[76:77], v[76:77], v[60:61]
	v_pk_add_f32 v[58:59], v[48:49], v[46:47] op_sel:[0,1] op_sel_hi:[1,0] neg_lo:[0,1] neg_hi:[0,1]
	v_pk_add_f32 v[46:47], v[48:49], v[46:47] op_sel:[0,1] op_sel_hi:[1,0]
	v_pk_add_f32 v[78:79], v[58:59], v[44:45] op_sel:[0,1] op_sel_hi:[1,0]
	v_pk_add_f32 v[48:49], v[46:47], v[44:45] op_sel:[0,1] op_sel_hi:[1,0] neg_lo:[0,1] neg_hi:[0,1]
	v_mov_b32_e32 v44, v78
	v_mov_b32_e32 v45, v49
	v_pk_fma_f32 v[44:45], v[76:77], s[6:7], v[44:45] op_sel_hi:[1,0,1]
	global_store_dwordx2 v[2:3], v[44:45], off offset:744
	global_load_dwordx4 v[44:47], v[56:57], off offset:2128
	s_nop 0
	global_load_dwordx4 v[58:61], v[56:57], off offset:2112
	v_mov_b32_e32 v49, v79
	v_pk_fma_f32 v[48:49], v[76:77], s[6:7], v[48:49] op_sel_hi:[1,0,1]
	v_mov_b32_e32 v73, v75
	global_store_dwordx2 v[2:3], v[48:49], off offset:2944
	v_pk_fma_f32 v[48:49], v[80:81], s[6:7], v[72:73] op_sel_hi:[1,0,1]
	global_store_dwordx2 v[52:53], v[48:49], off offset:1048
	v_mov_b32_e32 v34, v55
	v_mov_b32_e32 v4, v39
	s_waitcnt vmcnt(8)
	v_mov_b32_e32 v48, v71
	v_mov_b32_e32 v49, v70
	v_pk_mul_f32 v[48:49], v[40:41], v[48:49] op_sel_hi:[0,1]
	v_pk_fma_f32 v[56:57], v[22:23], v[70:71], v[48:49] neg_lo:[0,0,1] neg_hi:[0,0,1]
	v_pk_fma_f32 v[48:49], v[22:23], v[70:71], v[48:49] op_sel_hi:[0,1,1]
	v_mov_b32_e32 v22, v39
	v_pk_mul_f32 v[38:39], v[34:35], v[68:69] op_sel:[0,1] op_sel_hi:[0,0]
	v_mov_b32_e32 v34, v51
	v_mov_b32_e32 v57, v49
	v_pk_fma_f32 v[48:49], v[4:5], v[68:69], v[38:39] neg_lo:[0,0,1] neg_hi:[0,0,1]
	v_pk_fma_f32 v[38:39], v[22:23], v[68:69], v[38:39] op_sel_hi:[0,1,1]
	v_mov_b32_e32 v4, v35
	v_mov_b32_e32 v22, v35
	v_pk_mul_f32 v[34:35], v[34:35], v[64:65] op_sel:[0,1] op_sel_hi:[0,0]
	v_mov_b32_e32 v49, v39
	v_pk_fma_f32 v[38:39], v[4:5], v[64:65], v[34:35] neg_lo:[0,0,1] neg_hi:[0,0,1]
	v_pk_fma_f32 v[34:35], v[22:23], v[64:65], v[34:35] op_sel_hi:[0,1,1]
	v_mov_b32_e32 v39, v35
	v_mov_b32_e32 v34, v67
	;; [unrolled: 1-line block ×3, first 2 shown]
	v_pk_mul_f32 v[34:35], v[36:37], v[34:35] op_sel_hi:[0,1]
	v_pk_fma_f32 v[50:51], v[20:21], v[66:67], v[34:35] neg_lo:[0,0,1] neg_hi:[0,0,1]
	v_pk_fma_f32 v[34:35], v[20:21], v[66:67], v[34:35] op_sel_hi:[0,1,1]
	v_mov_b32_e32 v51, v35
	v_mov_b32_e32 v34, v16
	v_mov_b32_e32 v35, v28
	v_pk_add_f32 v[54:55], v[34:35], v[48:49]
	v_pk_add_f32 v[64:65], v[48:49], v[50:51] neg_lo:[0,1] neg_hi:[0,1]
	v_pk_add_f32 v[54:55], v[54:55], v[56:57]
	v_pk_add_f32 v[68:69], v[56:57], v[38:39] neg_lo:[0,1] neg_hi:[0,1]
	;; [unrolled: 2-line block ×3, first 2 shown]
	v_pk_add_f32 v[54:55], v[50:51], v[54:55]
	global_store_dwordx2 v[0:1], v[54:55], off offset:880
	v_pk_add_f32 v[54:55], v[56:57], v[38:39]
	v_pk_add_f32 v[56:57], v[56:57], v[48:49] neg_lo:[0,1] neg_hi:[0,1]
	v_pk_add_f32 v[48:49], v[48:49], v[50:51]
	v_pk_fma_f32 v[54:55], v[54:55], 0.5, v[34:35] op_sel_hi:[1,0,1] neg_lo:[1,0,0] neg_hi:[1,0,0]
	v_pk_mul_f32 v[66:67], v[64:65], s[2:3] op_sel_hi:[1,0]
	v_pk_add_f32 v[74:75], v[50:51], v[38:39] neg_lo:[0,1] neg_hi:[0,1]
	v_pk_add_f32 v[38:39], v[38:39], v[50:51] neg_lo:[0,1] neg_hi:[0,1]
	v_pk_fma_f32 v[34:35], v[48:49], 0.5, v[34:35] op_sel_hi:[1,0,1] neg_lo:[1,0,0] neg_hi:[1,0,0]
	v_pk_mul_f32 v[48:49], v[68:69], s[2:3] op_sel_hi:[1,0]
	v_pk_mul_f32 v[70:71], v[68:69], s[8:9] op_sel_hi:[1,0]
	v_pk_add_f32 v[72:73], v[72:73], v[74:75]
	v_pk_add_f32 v[74:75], v[54:55], v[66:67] op_sel:[0,1] op_sel_hi:[1,0]
	v_pk_add_f32 v[54:55], v[54:55], v[66:67] op_sel:[0,1] op_sel_hi:[1,0] neg_lo:[0,1] neg_hi:[0,1]
	v_pk_add_f32 v[38:39], v[56:57], v[38:39]
	v_pk_mul_f32 v[50:51], v[64:65], s[8:9] op_sel_hi:[1,0]
	v_pk_add_f32 v[56:57], v[34:35], v[48:49] op_sel:[0,1] op_sel_hi:[1,0] neg_lo:[0,1] neg_hi:[0,1]
	v_pk_add_f32 v[34:35], v[34:35], v[48:49] op_sel:[0,1] op_sel_hi:[1,0]
	v_pk_add_f32 v[54:55], v[54:55], v[70:71] op_sel:[0,1] op_sel_hi:[1,0] neg_lo:[0,1] neg_hi:[0,1]
	v_pk_add_f32 v[66:67], v[74:75], v[70:71] op_sel:[0,1] op_sel_hi:[1,0]
	v_pk_add_f32 v[34:35], v[34:35], v[50:51] op_sel:[0,1] op_sel_hi:[1,0] neg_lo:[0,1] neg_hi:[0,1]
	v_pk_add_f32 v[48:49], v[56:57], v[50:51] op_sel:[0,1] op_sel_hi:[1,0]
	v_mov_b32_e32 v70, v66
	v_mov_b32_e32 v71, v55
	;; [unrolled: 1-line block ×5, first 2 shown]
	v_pk_fma_f32 v[70:71], v[72:73], s[6:7], v[70:71] op_sel_hi:[1,0,1]
	v_pk_fma_f32 v[50:51], v[38:39], s[6:7], v[50:51] op_sel_hi:[1,0,1]
	;; [unrolled: 1-line block ×3, first 2 shown]
	global_store_dwordx2 v[0:1], v[70:71], off offset:3080
	global_store_dwordx2 v[2:3], v[50:51], off offset:1184
	;; [unrolled: 1-line block ×3, first 2 shown]
	v_mov_b32_e32 v55, v67
	v_pk_fma_f32 v[34:35], v[72:73], s[6:7], v[54:55] op_sel_hi:[1,0,1]
	global_load_dwordx4 v[48:51], v[42:43], off offset:2128
	global_load_dwordx4 v[54:57], v[42:43], off offset:2112
	v_mov_b32_e32 v4, v23
	global_store_dwordx2 v[52:53], v[34:35], off offset:1488
	s_waitcnt vmcnt(9)
	v_pk_mul_f32 v[34:35], v[30:31], v[58:59] op_sel:[0,1] op_sel_hi:[0,0]
	v_pk_fma_f32 v[38:39], v[14:15], v[58:59], v[34:35] neg_lo:[0,0,1] neg_hi:[0,0,1]
	v_pk_fma_f32 v[34:35], v[14:15], v[58:59], v[34:35] op_sel_hi:[0,1,1]
	v_mov_b32_e32 v14, v23
	v_mov_b32_e32 v16, v41
	;; [unrolled: 1-line block ×4, first 2 shown]
	v_pk_mul_f32 v[22:23], v[16:17], v[22:23] op_sel_hi:[0,1]
	v_mov_b32_e32 v39, v35
	v_pk_fma_f32 v[34:35], v[4:5], v[60:61], v[22:23] neg_lo:[0,0,1] neg_hi:[0,0,1]
	v_pk_fma_f32 v[22:23], v[14:15], v[60:61], v[22:23] op_sel_hi:[0,1,1]
	v_mov_b32_e32 v4, v21
	v_mov_b32_e32 v14, v21
	;; [unrolled: 1-line block ×5, first 2 shown]
	v_pk_mul_f32 v[20:21], v[16:17], v[20:21] op_sel_hi:[0,1]
	v_mov_b32_e32 v35, v23
	v_pk_fma_f32 v[22:23], v[4:5], v[46:47], v[20:21] neg_lo:[0,0,1] neg_hi:[0,0,1]
	v_pk_fma_f32 v[20:21], v[14:15], v[46:47], v[20:21] op_sel_hi:[0,1,1]
	v_mov_b32_e32 v23, v21
	v_pk_mul_f32 v[20:21], v[26:27], v[44:45] op_sel:[0,1] op_sel_hi:[0,0]
	v_mov_b32_e32 v28, v17
	v_pk_fma_f32 v[36:37], v[12:13], v[44:45], v[20:21] neg_lo:[0,0,1] neg_hi:[0,0,1]
	v_pk_fma_f32 v[20:21], v[12:13], v[44:45], v[20:21] op_sel_hi:[0,1,1]
	v_pk_add_f32 v[16:17], v[28:29], v[38:39]
	v_mov_b32_e32 v37, v21
	v_pk_add_f32 v[16:17], v[16:17], v[34:35]
	v_pk_add_f32 v[20:21], v[22:23], v[36:37] neg_lo:[0,1] neg_hi:[0,1]
	v_pk_add_f32 v[16:17], v[16:17], v[36:37]
	v_pk_add_f32 v[40:41], v[38:39], v[22:23] neg_lo:[0,1] neg_hi:[0,1]
	v_pk_add_f32 v[16:17], v[22:23], v[16:17]
	global_store_dwordx2 v[0:1], v[16:17], off offset:1320
	v_pk_add_f32 v[16:17], v[38:39], v[34:35] neg_lo:[0,1] neg_hi:[0,1]
	v_pk_mul_f32 v[42:43], v[40:41], s[2:3] op_sel_hi:[1,0]
	v_pk_add_f32 v[16:17], v[16:17], v[20:21]
	v_pk_add_f32 v[20:21], v[34:35], v[36:37]
	s_mov_b32 s0, 0xdca01dcb
	v_pk_fma_f32 v[20:21], v[20:21], 0.5, v[28:29] op_sel_hi:[1,0,1] neg_lo:[1,0,0] neg_hi:[1,0,0]
	v_mov_b32_e32 v12, v31
	v_pk_add_f32 v[44:45], v[20:21], v[42:43] op_sel:[0,1] op_sel_hi:[1,0]
	v_pk_add_f32 v[20:21], v[20:21], v[42:43] op_sel:[0,1] op_sel_hi:[1,0] neg_lo:[0,1] neg_hi:[0,1]
	v_pk_add_f32 v[42:43], v[34:35], v[36:37] neg_lo:[0,1] neg_hi:[0,1]
	v_pk_add_f32 v[36:37], v[36:37], v[22:23] neg_lo:[0,1] neg_hi:[0,1]
	v_pk_add_f32 v[22:23], v[38:39], v[22:23]
	v_pk_add_f32 v[34:35], v[34:35], v[38:39] neg_lo:[0,1] neg_hi:[0,1]
	v_pk_fma_f32 v[22:23], v[22:23], 0.5, v[28:29] op_sel_hi:[1,0,1] neg_lo:[1,0,0] neg_hi:[1,0,0]
	v_pk_mul_f32 v[28:29], v[42:43], s[2:3] op_sel_hi:[1,0]
	v_pk_add_f32 v[34:35], v[34:35], v[36:37]
	v_pk_mul_f32 v[36:37], v[40:41], s[8:9] op_sel_hi:[1,0]
	v_pk_add_f32 v[38:39], v[22:23], v[28:29] op_sel:[0,1] op_sel_hi:[1,0] neg_lo:[0,1] neg_hi:[0,1]
	v_pk_add_f32 v[22:23], v[22:23], v[28:29] op_sel:[0,1] op_sel_hi:[1,0]
	v_pk_mul_f32 v[46:47], v[42:43], s[8:9] op_sel_hi:[1,0]
	v_pk_add_f32 v[22:23], v[22:23], v[36:37] op_sel:[0,1] op_sel_hi:[1,0] neg_lo:[0,1] neg_hi:[0,1]
	v_pk_add_f32 v[28:29], v[38:39], v[36:37] op_sel:[0,1] op_sel_hi:[1,0]
	v_pk_add_f32 v[20:21], v[20:21], v[46:47] op_sel:[0,1] op_sel_hi:[1,0] neg_lo:[0,1] neg_hi:[0,1]
	v_pk_add_f32 v[44:45], v[44:45], v[46:47] op_sel:[0,1] op_sel_hi:[1,0]
	v_mov_b32_e32 v36, v28
	v_mov_b32_e32 v37, v23
	;; [unrolled: 1-line block ×4, first 2 shown]
	v_pk_fma_f32 v[36:37], v[34:35], s[6:7], v[36:37] op_sel_hi:[1,0,1]
	v_pk_fma_f32 v[22:23], v[34:35], s[6:7], v[22:23] op_sel_hi:[1,0,1]
	v_mov_b32_e32 v21, v45
	global_store_dwordx2 v[2:3], v[36:37], off offset:1624
	global_store_dwordx2 v[2:3], v[22:23], off offset:3824
	v_pk_fma_f32 v[2:3], v[16:17], s[6:7], v[20:21] op_sel_hi:[1,0,1]
	global_store_dwordx2 v[52:53], v[2:3], off offset:1928
	v_mul_hi_u32 v2, v62, s0
	v_sub_u32_e32 v3, v62, v2
	v_lshrrev_b32_e32 v3, 1, v3
	v_add_u32_e32 v2, v3, v2
	v_lshrrev_b32_e32 v2, 8, v2
	v_mov_b32_e32 v46, v44
	v_mul_u32_u24_e32 v4, 0x44c, v2
	v_pk_fma_f32 v[46:47], v[16:17], s[6:7], v[46:47] op_sel_hi:[1,0,1]
	global_store_dwordx2 v[0:1], v[46:47], off offset:3520
	s_waitcnt vmcnt(6)
	v_mov_b32_e32 v2, v57
	v_mov_b32_e32 v3, v56
	v_pk_mul_f32 v[2:3], v[32:33], v[2:3] op_sel_hi:[0,1]
	v_lshl_add_u64 v[0:1], v[4:5], 3, v[0:1]
	v_pk_fma_f32 v[4:5], v[8:9], v[56:57], v[2:3] neg_lo:[0,0,1] neg_hi:[0,0,1]
	v_pk_fma_f32 v[2:3], v[8:9], v[56:57], v[2:3] op_sel_hi:[0,1,1]
	v_mov_b32_e32 v2, v15
	v_mov_b32_e32 v8, v15
	v_pk_mul_f32 v[14:15], v[12:13], v[54:55] op_sel:[0,1] op_sel_hi:[0,0]
	v_mov_b32_e32 v5, v3
	v_pk_fma_f32 v[2:3], v[2:3], v[54:55], v[14:15] neg_lo:[0,0,1] neg_hi:[0,0,1]
	v_pk_fma_f32 v[8:9], v[8:9], v[54:55], v[14:15] op_sel_hi:[0,1,1]
	v_mov_b32_e32 v14, v27
	v_mov_b32_e32 v8, v13
	;; [unrolled: 1-line block ×3, first 2 shown]
	v_pk_mul_f32 v[14:15], v[14:15], v[48:49] op_sel:[0,1] op_sel_hi:[0,0]
	v_mov_b32_e32 v3, v9
	v_pk_fma_f32 v[8:9], v[8:9], v[48:49], v[14:15] neg_lo:[0,0,1] neg_hi:[0,0,1]
	v_pk_fma_f32 v[12:13], v[12:13], v[48:49], v[14:15] op_sel_hi:[0,1,1]
	v_mov_b32_e32 v9, v13
	v_mov_b32_e32 v12, v51
	;; [unrolled: 1-line block ×3, first 2 shown]
	v_pk_mul_f32 v[12:13], v[18:19], v[12:13] op_sel_hi:[0,1]
	v_pk_fma_f32 v[14:15], v[10:11], v[50:51], v[12:13] neg_lo:[0,0,1] neg_hi:[0,0,1]
	v_pk_fma_f32 v[10:11], v[10:11], v[50:51], v[12:13] op_sel_hi:[0,1,1]
	v_mov_b32_e32 v15, v11
	v_pk_add_f32 v[10:11], v[6:7], v[2:3]
	v_pk_add_f32 v[12:13], v[2:3], v[14:15] neg_lo:[0,1] neg_hi:[0,1]
	v_pk_add_f32 v[10:11], v[10:11], v[4:5]
	v_pk_mul_f32 v[16:17], v[12:13], s[2:3] op_sel_hi:[1,0]
	v_pk_add_f32 v[10:11], v[10:11], v[8:9]
	v_pk_add_f32 v[18:19], v[4:5], v[8:9] neg_lo:[0,1] neg_hi:[0,1]
	v_pk_add_f32 v[10:11], v[14:15], v[10:11]
	global_store_dwordx2 v[0:1], v[10:11], off offset:1760
	v_pk_add_f32 v[10:11], v[4:5], v[8:9]
	v_pk_add_f32 v[22:23], v[2:3], v[4:5] neg_lo:[0,1] neg_hi:[0,1]
	v_pk_fma_f32 v[10:11], v[10:11], 0.5, v[6:7] op_sel_hi:[1,0,1] neg_lo:[1,0,0] neg_hi:[1,0,0]
	v_pk_add_f32 v[24:25], v[14:15], v[8:9] neg_lo:[0,1] neg_hi:[0,1]
	v_pk_add_f32 v[4:5], v[4:5], v[2:3] neg_lo:[0,1] neg_hi:[0,1]
	v_pk_add_f32 v[2:3], v[2:3], v[14:15]
	v_pk_mul_f32 v[20:21], v[18:19], s[8:9] op_sel_hi:[1,0]
	v_pk_add_f32 v[22:23], v[22:23], v[24:25]
	v_pk_add_f32 v[24:25], v[10:11], v[16:17] op_sel:[0,1] op_sel_hi:[1,0]
	v_pk_add_f32 v[10:11], v[10:11], v[16:17] op_sel:[0,1] op_sel_hi:[1,0] neg_lo:[0,1] neg_hi:[0,1]
	v_pk_add_f32 v[8:9], v[8:9], v[14:15] neg_lo:[0,1] neg_hi:[0,1]
	v_pk_fma_f32 v[2:3], v[2:3], 0.5, v[6:7] op_sel_hi:[1,0,1] neg_lo:[1,0,0] neg_hi:[1,0,0]
	v_pk_mul_f32 v[6:7], v[18:19], s[2:3] op_sel_hi:[1,0]
	v_pk_add_f32 v[10:11], v[10:11], v[20:21] op_sel:[0,1] op_sel_hi:[1,0] neg_lo:[0,1] neg_hi:[0,1]
	v_pk_add_f32 v[16:17], v[24:25], v[20:21] op_sel:[0,1] op_sel_hi:[1,0]
	v_pk_add_f32 v[4:5], v[4:5], v[8:9]
	v_pk_mul_f32 v[8:9], v[12:13], s[8:9] op_sel_hi:[1,0]
	v_pk_add_f32 v[12:13], v[2:3], v[6:7] op_sel:[0,1] op_sel_hi:[1,0] neg_lo:[0,1] neg_hi:[0,1]
	v_mov_b32_e32 v20, v16
	v_mov_b32_e32 v21, v11
	v_pk_add_f32 v[2:3], v[2:3], v[6:7] op_sel:[0,1] op_sel_hi:[1,0]
	v_pk_add_f32 v[6:7], v[12:13], v[8:9] op_sel:[0,1] op_sel_hi:[1,0]
	v_add_co_u32_e32 v12, vcc, 0x1000, v0
	v_pk_fma_f32 v[20:21], v[22:23], s[6:7], v[20:21] op_sel_hi:[1,0,1]
	v_pk_add_f32 v[2:3], v[2:3], v[8:9] op_sel:[0,1] op_sel_hi:[1,0] neg_lo:[0,1] neg_hi:[0,1]
	v_addc_co_u32_e32 v13, vcc, 0, v1, vcc
	global_store_dwordx2 v[0:1], v[20:21], off offset:3960
	v_mov_b32_e32 v9, v3
	v_mov_b32_e32 v3, v7
	v_add_co_u32_e32 v0, vcc, 0x2000, v0
	v_mov_b32_e32 v8, v6
	v_pk_fma_f32 v[2:3], v[4:5], s[6:7], v[2:3] op_sel_hi:[1,0,1]
	v_addc_co_u32_e32 v1, vcc, 0, v1, vcc
	v_mov_b32_e32 v11, v17
	v_pk_fma_f32 v[8:9], v[4:5], s[6:7], v[8:9] op_sel_hi:[1,0,1]
	global_store_dwordx2 v[0:1], v[2:3], off offset:168
	v_pk_fma_f32 v[2:3], v[22:23], s[6:7], v[10:11] op_sel_hi:[1,0,1]
	global_store_dwordx2 v[12:13], v[8:9], off offset:2064
	global_store_dwordx2 v[0:1], v[2:3], off offset:2368
.LBB0_19:
	s_endpgm
	.section	.rodata,"a",@progbits
	.p2align	6, 0x0
	.amdhsa_kernel fft_rtc_fwd_len1375_factors_11_5_5_5_wgs_55_tpt_55_halfLds_sp_ip_CI_unitstride_sbrr_dirReg
		.amdhsa_group_segment_fixed_size 0
		.amdhsa_private_segment_fixed_size 0
		.amdhsa_kernarg_size 88
		.amdhsa_user_sgpr_count 2
		.amdhsa_user_sgpr_dispatch_ptr 0
		.amdhsa_user_sgpr_queue_ptr 0
		.amdhsa_user_sgpr_kernarg_segment_ptr 1
		.amdhsa_user_sgpr_dispatch_id 0
		.amdhsa_user_sgpr_kernarg_preload_length 0
		.amdhsa_user_sgpr_kernarg_preload_offset 0
		.amdhsa_user_sgpr_private_segment_size 0
		.amdhsa_uses_dynamic_stack 0
		.amdhsa_enable_private_segment 0
		.amdhsa_system_sgpr_workgroup_id_x 1
		.amdhsa_system_sgpr_workgroup_id_y 0
		.amdhsa_system_sgpr_workgroup_id_z 0
		.amdhsa_system_sgpr_workgroup_info 0
		.amdhsa_system_vgpr_workitem_id 0
		.amdhsa_next_free_vgpr 165
		.amdhsa_next_free_sgpr 46
		.amdhsa_accum_offset 168
		.amdhsa_reserve_vcc 1
		.amdhsa_float_round_mode_32 0
		.amdhsa_float_round_mode_16_64 0
		.amdhsa_float_denorm_mode_32 3
		.amdhsa_float_denorm_mode_16_64 3
		.amdhsa_dx10_clamp 1
		.amdhsa_ieee_mode 1
		.amdhsa_fp16_overflow 0
		.amdhsa_tg_split 0
		.amdhsa_exception_fp_ieee_invalid_op 0
		.amdhsa_exception_fp_denorm_src 0
		.amdhsa_exception_fp_ieee_div_zero 0
		.amdhsa_exception_fp_ieee_overflow 0
		.amdhsa_exception_fp_ieee_underflow 0
		.amdhsa_exception_fp_ieee_inexact 0
		.amdhsa_exception_int_div_zero 0
	.end_amdhsa_kernel
	.text
.Lfunc_end0:
	.size	fft_rtc_fwd_len1375_factors_11_5_5_5_wgs_55_tpt_55_halfLds_sp_ip_CI_unitstride_sbrr_dirReg, .Lfunc_end0-fft_rtc_fwd_len1375_factors_11_5_5_5_wgs_55_tpt_55_halfLds_sp_ip_CI_unitstride_sbrr_dirReg
                                        ; -- End function
	.section	.AMDGPU.csdata,"",@progbits
; Kernel info:
; codeLenInByte = 15868
; NumSgprs: 52
; NumVgprs: 165
; NumAgprs: 0
; TotalNumVgprs: 165
; ScratchSize: 0
; MemoryBound: 0
; FloatMode: 240
; IeeeMode: 1
; LDSByteSize: 0 bytes/workgroup (compile time only)
; SGPRBlocks: 6
; VGPRBlocks: 20
; NumSGPRsForWavesPerEU: 52
; NumVGPRsForWavesPerEU: 165
; AccumOffset: 168
; Occupancy: 3
; WaveLimiterHint : 1
; COMPUTE_PGM_RSRC2:SCRATCH_EN: 0
; COMPUTE_PGM_RSRC2:USER_SGPR: 2
; COMPUTE_PGM_RSRC2:TRAP_HANDLER: 0
; COMPUTE_PGM_RSRC2:TGID_X_EN: 1
; COMPUTE_PGM_RSRC2:TGID_Y_EN: 0
; COMPUTE_PGM_RSRC2:TGID_Z_EN: 0
; COMPUTE_PGM_RSRC2:TIDIG_COMP_CNT: 0
; COMPUTE_PGM_RSRC3_GFX90A:ACCUM_OFFSET: 41
; COMPUTE_PGM_RSRC3_GFX90A:TG_SPLIT: 0
	.text
	.p2alignl 6, 3212836864
	.fill 256, 4, 3212836864
	.type	__hip_cuid_8f72d9d5d5f8bc2a,@object ; @__hip_cuid_8f72d9d5d5f8bc2a
	.section	.bss,"aw",@nobits
	.globl	__hip_cuid_8f72d9d5d5f8bc2a
__hip_cuid_8f72d9d5d5f8bc2a:
	.byte	0                               ; 0x0
	.size	__hip_cuid_8f72d9d5d5f8bc2a, 1

	.ident	"AMD clang version 19.0.0git (https://github.com/RadeonOpenCompute/llvm-project roc-6.4.0 25133 c7fe45cf4b819c5991fe208aaa96edf142730f1d)"
	.section	".note.GNU-stack","",@progbits
	.addrsig
	.addrsig_sym __hip_cuid_8f72d9d5d5f8bc2a
	.amdgpu_metadata
---
amdhsa.kernels:
  - .agpr_count:     0
    .args:
      - .actual_access:  read_only
        .address_space:  global
        .offset:         0
        .size:           8
        .value_kind:     global_buffer
      - .offset:         8
        .size:           8
        .value_kind:     by_value
      - .actual_access:  read_only
        .address_space:  global
        .offset:         16
        .size:           8
        .value_kind:     global_buffer
      - .actual_access:  read_only
        .address_space:  global
        .offset:         24
        .size:           8
        .value_kind:     global_buffer
      - .offset:         32
        .size:           8
        .value_kind:     by_value
      - .actual_access:  read_only
        .address_space:  global
        .offset:         40
        .size:           8
        .value_kind:     global_buffer
      - .actual_access:  read_only
        .address_space:  global
        .offset:         48
        .size:           8
        .value_kind:     global_buffer
      - .offset:         56
        .size:           4
        .value_kind:     by_value
      - .actual_access:  read_only
        .address_space:  global
        .offset:         64
        .size:           8
        .value_kind:     global_buffer
      - .actual_access:  read_only
        .address_space:  global
        .offset:         72
        .size:           8
        .value_kind:     global_buffer
      - .address_space:  global
        .offset:         80
        .size:           8
        .value_kind:     global_buffer
    .group_segment_fixed_size: 0
    .kernarg_segment_align: 8
    .kernarg_segment_size: 88
    .language:       OpenCL C
    .language_version:
      - 2
      - 0
    .max_flat_workgroup_size: 55
    .name:           fft_rtc_fwd_len1375_factors_11_5_5_5_wgs_55_tpt_55_halfLds_sp_ip_CI_unitstride_sbrr_dirReg
    .private_segment_fixed_size: 0
    .sgpr_count:     52
    .sgpr_spill_count: 0
    .symbol:         fft_rtc_fwd_len1375_factors_11_5_5_5_wgs_55_tpt_55_halfLds_sp_ip_CI_unitstride_sbrr_dirReg.kd
    .uniform_work_group_size: 1
    .uses_dynamic_stack: false
    .vgpr_count:     165
    .vgpr_spill_count: 0
    .wavefront_size: 64
amdhsa.target:   amdgcn-amd-amdhsa--gfx950
amdhsa.version:
  - 1
  - 2
...

	.end_amdgpu_metadata
